;; amdgpu-corpus repo=ROCm/vllm kind=compiled arch=gfx90a opt=O3
	.text
	.amdgcn_target "amdgcn-amd-amdhsa--gfx90a"
	.amdhsa_code_object_version 6
	.section	.text._ZN4vllm23rotary_embedding_kernelIfLb1EEEvPKlPT_S4_PKS3_illliii,"axG",@progbits,_ZN4vllm23rotary_embedding_kernelIfLb1EEEvPKlPT_S4_PKS3_illliii,comdat
	.protected	_ZN4vllm23rotary_embedding_kernelIfLb1EEEvPKlPT_S4_PKS3_illliii ; -- Begin function _ZN4vllm23rotary_embedding_kernelIfLb1EEEvPKlPT_S4_PKS3_illliii
	.globl	_ZN4vllm23rotary_embedding_kernelIfLb1EEEvPKlPT_S4_PKS3_illliii
	.p2align	8
	.type	_ZN4vllm23rotary_embedding_kernelIfLb1EEEvPKlPT_S4_PKS3_illliii,@function
_ZN4vllm23rotary_embedding_kernelIfLb1EEEvPKlPT_S4_PKS3_illliii: ; @_ZN4vllm23rotary_embedding_kernelIfLb1EEEvPKlPT_S4_PKS3_illliii
; %bb.0:
	s_load_dword s22, s[4:5], 0x20
	s_load_dwordx2 s[8:9], s[4:5], 0x0
	s_load_dwordx4 s[0:3], s[4:5], 0x10
	s_ashr_i32 s7, s6, 31
	s_lshl_b64 s[10:11], s[6:7], 3
	s_waitcnt lgkmcnt(0)
	s_ashr_i32 s20, s22, 31
	s_add_u32 s16, s8, s10
	s_addc_u32 s17, s9, s11
	s_load_dwordx2 s[18:19], s[16:17], 0x0
	s_load_dwordx8 s[8:15], s[4:5], 0x28
	s_waitcnt lgkmcnt(0)
	s_mul_i32 s16, s18, s20
	s_mul_hi_u32 s17, s18, s22
	s_add_i32 s16, s17, s16
	s_mul_i32 s17, s19, s22
	s_add_i32 s17, s16, s17
	s_mul_i32 s16, s18, s22
	s_lshl_b64 s[16:17], s[16:17], 2
	s_add_u32 s20, s2, s16
	s_addc_u32 s21, s3, s17
	s_lshr_b32 s2, s22, 31
	s_add_i32 s22, s22, s2
	s_ashr_i32 s16, s22, 1
	s_ashr_i32 s17, s16, 31
	s_lshl_b64 s[2:3], s[16:17], 2
	s_add_u32 s17, s20, s2
	s_mul_i32 s14, s16, s14
	s_addc_u32 s22, s21, s3
	v_cmp_gt_i32_e32 vcc, s14, v0
	s_and_saveexec_b64 s[18:19], vcc
	s_cbranch_execz .LBB0_3
; %bb.1:
	s_load_dwordx2 s[24:25], s[4:5], 0x8
	s_load_dword s26, s[4:5], 0x5c
	s_mul_i32 s9, s6, s9
	s_mul_hi_u32 s23, s6, s8
	s_add_i32 s9, s23, s9
	s_mul_i32 s23, s7, s8
	s_add_i32 s9, s9, s23
	s_mul_i32 s8, s6, s8
	s_lshl_b64 s[8:9], s[8:9], 2
	s_waitcnt lgkmcnt(0)
	s_add_u32 s23, s24, s8
	s_addc_u32 s28, s25, s9
	s_abs_i32 s24, s16
	v_cvt_f32_u32_e32 v1, s24
	s_sub_i32 s8, 0, s24
	s_and_b32 s25, s26, 0xffff
	s_ashr_i32 s26, s16, 31
	v_rcp_iflag_f32_e32 v1, v1
	s_sub_i32 s27, 0, s16
	v_mov_b32_e32 v3, s28
	v_mov_b32_e32 v4, s21
	v_mul_f32_e32 v1, 0x4f7ffffe, v1
	v_cvt_u32_f32_e32 v1, v1
	v_mov_b32_e32 v5, s22
	v_mov_b32_e32 v6, s3
	v_mul_lo_u32 v2, s8, v1
	v_mul_hi_u32 v2, v1, v2
	v_add_u32_e32 v1, v1, v2
	s_mov_b64 s[8:9], 0
	v_mov_b32_e32 v2, v0
.LBB0_2:                                ; =>This Inner Loop Header: Depth=1
	v_sub_u32_e32 v8, 0, v2
	v_max_i32_e32 v8, v2, v8
	v_mul_hi_u32 v9, v8, v1
	v_mul_lo_u32 v10, v9, s24
	v_sub_u32_e32 v8, v8, v10
	v_add_u32_e32 v11, 1, v9
	v_cmp_le_u32_e32 vcc, s24, v8
	v_subrev_u32_e32 v10, s24, v8
	v_cndmask_b32_e32 v9, v9, v11, vcc
	v_cndmask_b32_e32 v8, v8, v10, vcc
	v_ashrrev_i32_e32 v7, 31, v2
	v_add_u32_e32 v10, 1, v9
	v_cmp_le_u32_e32 vcc, s24, v8
	v_xor_b32_e32 v7, s26, v7
	v_cndmask_b32_e32 v8, v9, v10, vcc
	v_xor_b32_e32 v8, v8, v7
	v_sub_u32_e32 v7, v8, v7
	v_mad_u64_u32 v[10:11], s[28:29], s27, v7, v[2:3]
	v_ashrrev_i32_e32 v11, 31, v10
	v_ashrrev_i32_e32 v12, 31, v7
	v_lshlrev_b64 v[10:11], 2, v[10:11]
	v_mul_lo_u32 v13, v7, s13
	v_mad_u64_u32 v[8:9], s[28:29], v7, s12, 0
	v_mul_lo_u32 v7, v12, s12
	v_add_co_u32_e32 v12, vcc, s20, v10
	v_add3_u32 v9, v9, v13, v7
	v_addc_co_u32_e32 v13, vcc, v4, v11, vcc
	v_add_co_u32_e32 v14, vcc, s17, v10
	v_lshlrev_b64 v[8:9], 2, v[8:9]
	v_addc_co_u32_e32 v15, vcc, v5, v11, vcc
	v_add_co_u32_e32 v7, vcc, s23, v8
	v_addc_co_u32_e32 v9, vcc, v3, v9, vcc
	v_add_co_u32_e32 v8, vcc, v7, v10
	;; [unrolled: 2-line block ×3, first 2 shown]
	global_load_dword v16, v[12:13], off
	global_load_dword v17, v[14:15], off
	v_addc_co_u32_e32 v11, vcc, v9, v6, vcc
	global_load_dword v7, v[8:9], off
	global_load_dword v12, v[10:11], off
	v_add_u32_e32 v2, s25, v2
	v_cmp_le_i32_e32 vcc, s14, v2
	s_or_b64 s[8:9], vcc, s[8:9]
	s_waitcnt vmcnt(0)
	v_mul_f32_e32 v13, v17, v12
	v_mul_f32_e32 v12, v16, v12
	v_fma_f32 v13, v16, v7, -v13
	v_fmac_f32_e32 v12, v17, v7
	global_store_dword v[8:9], v13, off
	global_store_dword v[10:11], v12, off
	s_andn2_b64 exec, exec, s[8:9]
	s_cbranch_execnz .LBB0_2
.LBB0_3:
	s_or_b64 exec, exec, s[18:19]
	s_cmp_lg_u64 s[0:1], 0
	s_cbranch_scc0 .LBB0_7
; %bb.4:
	s_mul_i32 s8, s16, s15
	v_cmp_gt_i32_e32 vcc, s8, v0
	s_and_saveexec_b64 s[14:15], vcc
	s_cbranch_execz .LBB0_7
; %bb.5:
	s_mul_i32 s9, s6, s11
	s_mul_hi_u32 s11, s6, s10
	s_add_i32 s9, s11, s9
	s_mul_i32 s7, s7, s10
	s_add_i32 s7, s9, s7
	s_mul_i32 s6, s6, s10
	s_lshl_b64 s[6:7], s[6:7], 2
	s_add_u32 s6, s0, s6
	s_addc_u32 s10, s1, s7
	s_abs_i32 s7, s16
	v_cvt_f32_u32_e32 v1, s7
	s_load_dword s0, s[4:5], 0x5c
	s_ashr_i32 s5, s16, 31
	s_sub_i32 s9, 0, s16
	v_rcp_iflag_f32_e32 v1, v1
	v_mov_b32_e32 v3, s21
	s_waitcnt lgkmcnt(0)
	s_and_b32 s4, s0, 0xffff
	s_sub_i32 s0, 0, s7
	v_mul_f32_e32 v1, 0x4f7ffffe, v1
	v_cvt_u32_f32_e32 v1, v1
	v_mov_b32_e32 v4, s22
	v_mov_b32_e32 v5, s3
	v_mul_lo_u32 v2, s0, v1
	v_mul_hi_u32 v2, v1, v2
	v_add_u32_e32 v1, v1, v2
	s_mov_b64 s[0:1], 0
	v_mov_b32_e32 v2, s10
.LBB0_6:                                ; =>This Inner Loop Header: Depth=1
	v_sub_u32_e32 v7, 0, v0
	v_max_i32_e32 v7, v0, v7
	v_mul_hi_u32 v8, v7, v1
	v_mul_lo_u32 v9, v8, s7
	v_sub_u32_e32 v7, v7, v9
	v_add_u32_e32 v10, 1, v8
	v_cmp_le_u32_e32 vcc, s7, v7
	v_subrev_u32_e32 v9, s7, v7
	v_cndmask_b32_e32 v8, v8, v10, vcc
	v_cndmask_b32_e32 v7, v7, v9, vcc
	v_ashrrev_i32_e32 v6, 31, v0
	v_add_u32_e32 v9, 1, v8
	v_cmp_le_u32_e32 vcc, s7, v7
	v_xor_b32_e32 v6, s5, v6
	v_cndmask_b32_e32 v7, v8, v9, vcc
	v_xor_b32_e32 v7, v7, v6
	v_sub_u32_e32 v8, v7, v6
	v_ashrrev_i32_e32 v10, 31, v8
	v_mul_lo_u32 v11, v8, s13
	v_mad_u64_u32 v[6:7], s[10:11], v8, s12, 0
	v_mad_u64_u32 v[8:9], s[10:11], s9, v8, v[0:1]
	v_ashrrev_i32_e32 v9, 31, v8
	v_mul_lo_u32 v10, v10, s12
	v_lshlrev_b64 v[8:9], 2, v[8:9]
	v_add3_u32 v7, v7, v11, v10
	v_add_co_u32_e32 v10, vcc, s20, v8
	v_addc_co_u32_e32 v11, vcc, v3, v9, vcc
	v_add_co_u32_e32 v12, vcc, s17, v8
	v_lshlrev_b64 v[6:7], 2, v[6:7]
	v_addc_co_u32_e32 v13, vcc, v4, v9, vcc
	v_add_co_u32_e32 v6, vcc, s6, v6
	v_addc_co_u32_e32 v7, vcc, v2, v7, vcc
	v_add_co_u32_e32 v6, vcc, v6, v8
	;; [unrolled: 2-line block ×3, first 2 shown]
	global_load_dword v14, v[10:11], off
	global_load_dword v15, v[12:13], off
	v_addc_co_u32_e32 v9, vcc, v7, v5, vcc
	global_load_dword v10, v[6:7], off
	global_load_dword v11, v[8:9], off
	v_add_u32_e32 v0, s4, v0
	v_cmp_le_i32_e32 vcc, s8, v0
	s_or_b64 s[0:1], vcc, s[0:1]
	s_waitcnt vmcnt(0)
	v_mul_f32_e32 v12, v15, v11
	v_mul_f32_e32 v11, v14, v11
	v_fma_f32 v12, v14, v10, -v12
	v_fmac_f32_e32 v11, v15, v10
	global_store_dword v[6:7], v12, off
	global_store_dword v[8:9], v11, off
	s_andn2_b64 exec, exec, s[0:1]
	s_cbranch_execnz .LBB0_6
.LBB0_7:
	s_endpgm
	.section	.rodata,"a",@progbits
	.p2align	6, 0x0
	.amdhsa_kernel _ZN4vllm23rotary_embedding_kernelIfLb1EEEvPKlPT_S4_PKS3_illliii
		.amdhsa_group_segment_fixed_size 0
		.amdhsa_private_segment_fixed_size 0
		.amdhsa_kernarg_size 336
		.amdhsa_user_sgpr_count 6
		.amdhsa_user_sgpr_private_segment_buffer 1
		.amdhsa_user_sgpr_dispatch_ptr 0
		.amdhsa_user_sgpr_queue_ptr 0
		.amdhsa_user_sgpr_kernarg_segment_ptr 1
		.amdhsa_user_sgpr_dispatch_id 0
		.amdhsa_user_sgpr_flat_scratch_init 0
		.amdhsa_user_sgpr_kernarg_preload_length 0
		.amdhsa_user_sgpr_kernarg_preload_offset 0
		.amdhsa_user_sgpr_private_segment_size 0
		.amdhsa_uses_dynamic_stack 0
		.amdhsa_system_sgpr_private_segment_wavefront_offset 0
		.amdhsa_system_sgpr_workgroup_id_x 1
		.amdhsa_system_sgpr_workgroup_id_y 0
		.amdhsa_system_sgpr_workgroup_id_z 0
		.amdhsa_system_sgpr_workgroup_info 0
		.amdhsa_system_vgpr_workitem_id 0
		.amdhsa_next_free_vgpr 18
		.amdhsa_next_free_sgpr 30
		.amdhsa_accum_offset 20
		.amdhsa_reserve_vcc 1
		.amdhsa_reserve_flat_scratch 0
		.amdhsa_float_round_mode_32 0
		.amdhsa_float_round_mode_16_64 0
		.amdhsa_float_denorm_mode_32 3
		.amdhsa_float_denorm_mode_16_64 3
		.amdhsa_dx10_clamp 1
		.amdhsa_ieee_mode 1
		.amdhsa_fp16_overflow 0
		.amdhsa_tg_split 0
		.amdhsa_exception_fp_ieee_invalid_op 0
		.amdhsa_exception_fp_denorm_src 0
		.amdhsa_exception_fp_ieee_div_zero 0
		.amdhsa_exception_fp_ieee_overflow 0
		.amdhsa_exception_fp_ieee_underflow 0
		.amdhsa_exception_fp_ieee_inexact 0
		.amdhsa_exception_int_div_zero 0
	.end_amdhsa_kernel
	.section	.text._ZN4vllm23rotary_embedding_kernelIfLb1EEEvPKlPT_S4_PKS3_illliii,"axG",@progbits,_ZN4vllm23rotary_embedding_kernelIfLb1EEEvPKlPT_S4_PKS3_illliii,comdat
.Lfunc_end0:
	.size	_ZN4vllm23rotary_embedding_kernelIfLb1EEEvPKlPT_S4_PKS3_illliii, .Lfunc_end0-_ZN4vllm23rotary_embedding_kernelIfLb1EEEvPKlPT_S4_PKS3_illliii
                                        ; -- End function
	.section	.AMDGPU.csdata,"",@progbits
; Kernel info:
; codeLenInByte = 1000
; NumSgprs: 34
; NumVgprs: 18
; NumAgprs: 0
; TotalNumVgprs: 18
; ScratchSize: 0
; MemoryBound: 0
; FloatMode: 240
; IeeeMode: 1
; LDSByteSize: 0 bytes/workgroup (compile time only)
; SGPRBlocks: 4
; VGPRBlocks: 2
; NumSGPRsForWavesPerEU: 34
; NumVGPRsForWavesPerEU: 18
; AccumOffset: 20
; Occupancy: 8
; WaveLimiterHint : 1
; COMPUTE_PGM_RSRC2:SCRATCH_EN: 0
; COMPUTE_PGM_RSRC2:USER_SGPR: 6
; COMPUTE_PGM_RSRC2:TRAP_HANDLER: 0
; COMPUTE_PGM_RSRC2:TGID_X_EN: 1
; COMPUTE_PGM_RSRC2:TGID_Y_EN: 0
; COMPUTE_PGM_RSRC2:TGID_Z_EN: 0
; COMPUTE_PGM_RSRC2:TIDIG_COMP_CNT: 0
; COMPUTE_PGM_RSRC3_GFX90A:ACCUM_OFFSET: 4
; COMPUTE_PGM_RSRC3_GFX90A:TG_SPLIT: 0
	.section	.text._ZN4vllm23rotary_embedding_kernelIfLb0EEEvPKlPT_S4_PKS3_illliii,"axG",@progbits,_ZN4vllm23rotary_embedding_kernelIfLb0EEEvPKlPT_S4_PKS3_illliii,comdat
	.protected	_ZN4vllm23rotary_embedding_kernelIfLb0EEEvPKlPT_S4_PKS3_illliii ; -- Begin function _ZN4vllm23rotary_embedding_kernelIfLb0EEEvPKlPT_S4_PKS3_illliii
	.globl	_ZN4vllm23rotary_embedding_kernelIfLb0EEEvPKlPT_S4_PKS3_illliii
	.p2align	8
	.type	_ZN4vllm23rotary_embedding_kernelIfLb0EEEvPKlPT_S4_PKS3_illliii,@function
_ZN4vllm23rotary_embedding_kernelIfLb0EEEvPKlPT_S4_PKS3_illliii: ; @_ZN4vllm23rotary_embedding_kernelIfLb0EEEvPKlPT_S4_PKS3_illliii
; %bb.0:
	s_load_dword s21, s[4:5], 0x20
	s_load_dwordx2 s[8:9], s[4:5], 0x0
	s_load_dwordx4 s[0:3], s[4:5], 0x10
	s_ashr_i32 s7, s6, 31
	s_lshl_b64 s[10:11], s[6:7], 3
	s_waitcnt lgkmcnt(0)
	s_ashr_i32 s20, s21, 31
	s_add_u32 s16, s8, s10
	s_addc_u32 s17, s9, s11
	s_load_dwordx2 s[18:19], s[16:17], 0x0
	s_load_dwordx8 s[8:15], s[4:5], 0x28
	s_waitcnt lgkmcnt(0)
	s_mul_i32 s16, s18, s20
	s_mul_hi_u32 s17, s18, s21
	s_add_i32 s16, s17, s16
	s_mul_i32 s17, s19, s21
	s_add_i32 s17, s16, s17
	s_mul_i32 s16, s18, s21
	s_lshl_b64 s[16:17], s[16:17], 2
	s_add_u32 s18, s2, s16
	s_addc_u32 s20, s3, s17
	s_lshr_b32 s2, s21, 31
	s_add_i32 s21, s21, s2
	s_ashr_i32 s2, s21, 1
	s_ashr_i32 s3, s2, 31
	s_lshl_b64 s[16:17], s[2:3], 2
	s_add_u32 s19, s18, s16
	s_mul_i32 s14, s2, s14
	s_addc_u32 s21, s20, s17
	v_cmp_gt_i32_e32 vcc, s14, v0
	s_and_saveexec_b64 s[16:17], vcc
	s_cbranch_execz .LBB1_3
; %bb.1:
	s_mul_i32 s9, s6, s9
	s_mul_hi_u32 s22, s6, s8
	s_add_i32 s9, s22, s9
	s_load_dwordx2 s[22:23], s[4:5], 0x8
	s_mul_i32 s24, s7, s8
	s_add_i32 s9, s9, s24
	s_load_dword s24, s[4:5], 0x5c
	s_mul_i32 s8, s6, s8
	s_lshl_b64 s[8:9], s[8:9], 2
	s_waitcnt lgkmcnt(0)
	s_add_u32 s22, s22, s8
	s_addc_u32 s28, s23, s9
	s_abs_i32 s23, s2
	v_cvt_f32_u32_e32 v1, s23
	s_sub_i32 s9, 0, s23
	s_and_b32 s24, s24, 0xffff
	s_lshl_b32 s8, s2, 1
	v_rcp_iflag_f32_e32 v1, v1
	s_sub_i32 s25, 0, s8
	s_lshl_b32 s26, s24, 1
	s_sub_i32 s27, 0, s2
	v_mul_f32_e32 v1, 0x4f7ffffe, v1
	v_cvt_u32_f32_e32 v1, v1
	v_mov_b32_e32 v3, s28
	v_mov_b32_e32 v5, s20
	;; [unrolled: 1-line block ×3, first 2 shown]
	v_mul_lo_u32 v2, s9, v1
	v_mul_hi_u32 v2, v1, v2
	v_add_u32_e32 v1, v1, v2
	v_lshlrev_b32_e32 v2, 1, v0
	s_mov_b64 s[8:9], 0
	v_mov_b32_e32 v4, v0
.LBB1_2:                                ; =>This Inner Loop Header: Depth=1
	v_sub_u32_e32 v8, 0, v4
	v_max_i32_e32 v8, v4, v8
	v_mul_hi_u32 v9, v8, v1
	v_mul_lo_u32 v10, v9, s23
	v_sub_u32_e32 v8, v8, v10
	v_add_u32_e32 v11, 1, v9
	v_cmp_le_u32_e32 vcc, s23, v8
	v_subrev_u32_e32 v10, s23, v8
	v_cndmask_b32_e32 v9, v9, v11, vcc
	v_cndmask_b32_e32 v8, v8, v10, vcc
	v_ashrrev_i32_e32 v7, 31, v4
	v_add_u32_e32 v10, 1, v9
	v_cmp_le_u32_e32 vcc, s23, v8
	v_xor_b32_e32 v7, s3, v7
	v_cndmask_b32_e32 v8, v9, v10, vcc
	v_xor_b32_e32 v8, v8, v7
	v_sub_u32_e32 v7, v8, v7
	v_mad_u64_u32 v[10:11], s[28:29], s27, v7, v[4:5]
	v_ashrrev_i32_e32 v11, 31, v10
	v_ashrrev_i32_e32 v14, 31, v7
	v_lshlrev_b64 v[10:11], 2, v[10:11]
	v_mul_lo_u32 v15, v7, s13
	v_mad_u64_u32 v[8:9], s[28:29], v7, s12, 0
	v_mad_u64_u32 v[12:13], s[28:29], s25, v7, v[2:3]
	v_mul_lo_u32 v7, v14, s12
	v_add_co_u32_e32 v14, vcc, s18, v10
	v_add3_u32 v9, v9, v15, v7
	v_addc_co_u32_e32 v15, vcc, v5, v11, vcc
	v_add_co_u32_e32 v10, vcc, s19, v10
	v_lshlrev_b64 v[8:9], 2, v[8:9]
	v_addc_co_u32_e32 v11, vcc, v6, v11, vcc
	v_ashrrev_i32_e32 v13, 31, v12
	v_add_co_u32_e32 v7, vcc, s22, v8
	v_lshlrev_b64 v[12:13], 2, v[12:13]
	v_addc_co_u32_e32 v9, vcc, v3, v9, vcc
	v_add_co_u32_e32 v8, vcc, v7, v12
	v_addc_co_u32_e32 v9, vcc, v9, v13, vcc
	global_load_dword v16, v[14:15], off
	global_load_dword v17, v[10:11], off
	v_add_u32_e32 v4, s24, v4
	global_load_dwordx2 v[10:11], v[8:9], off
	v_cmp_le_i32_e32 vcc, s14, v4
	v_add_u32_e32 v2, s26, v2
	s_or_b64 s[8:9], vcc, s[8:9]
	s_waitcnt vmcnt(0)
	v_mul_f32_e32 v7, v17, v11
	v_mul_f32_e32 v13, v16, v11
	v_fma_f32 v12, v16, v10, -v7
	v_fmac_f32_e32 v13, v17, v10
	global_store_dwordx2 v[8:9], v[12:13], off
	s_andn2_b64 exec, exec, s[8:9]
	s_cbranch_execnz .LBB1_2
.LBB1_3:
	s_or_b64 exec, exec, s[16:17]
	s_cmp_lg_u64 s[0:1], 0
	s_cbranch_scc0 .LBB1_7
; %bb.4:
	s_mul_i32 s8, s2, s15
	v_cmp_gt_i32_e32 vcc, s8, v0
	s_and_saveexec_b64 s[14:15], vcc
	s_cbranch_execz .LBB1_7
; %bb.5:
	s_mul_i32 s9, s6, s11
	s_mul_hi_u32 s11, s6, s10
	s_add_i32 s9, s11, s9
	s_mul_i32 s7, s7, s10
	s_add_i32 s7, s9, s7
	s_mul_i32 s6, s6, s10
	s_lshl_b64 s[6:7], s[6:7], 2
	s_add_u32 s6, s0, s6
	s_addc_u32 s10, s1, s7
	s_abs_i32 s7, s2
	v_cvt_f32_u32_e32 v1, s7
	s_load_dword s0, s[4:5], 0x5c
	s_sub_i32 s1, 0, s7
	v_mov_b32_e32 v3, s10
	v_rcp_iflag_f32_e32 v1, v1
	v_mov_b32_e32 v4, s20
	s_waitcnt lgkmcnt(0)
	s_and_b32 s4, s0, 0xffff
	s_lshl_b32 s0, s2, 1
	v_mul_f32_e32 v1, 0x4f7ffffe, v1
	v_cvt_u32_f32_e32 v1, v1
	s_sub_i32 s5, 0, s0
	s_lshl_b32 s9, s4, 1
	s_sub_i32 s2, 0, s2
	v_mul_lo_u32 v2, s1, v1
	v_mul_hi_u32 v2, v1, v2
	v_add_u32_e32 v1, v1, v2
	v_lshlrev_b32_e32 v2, 1, v0
	s_mov_b64 s[0:1], 0
	v_mov_b32_e32 v5, s21
.LBB1_6:                                ; =>This Inner Loop Header: Depth=1
	v_sub_u32_e32 v7, 0, v0
	v_max_i32_e32 v7, v0, v7
	v_mul_hi_u32 v8, v7, v1
	v_mul_lo_u32 v9, v8, s7
	v_sub_u32_e32 v7, v7, v9
	v_add_u32_e32 v10, 1, v8
	v_cmp_le_u32_e32 vcc, s7, v7
	v_subrev_u32_e32 v9, s7, v7
	v_cndmask_b32_e32 v8, v8, v10, vcc
	v_cndmask_b32_e32 v7, v7, v9, vcc
	v_ashrrev_i32_e32 v6, 31, v0
	v_add_u32_e32 v9, 1, v8
	v_cmp_le_u32_e32 vcc, s7, v7
	v_xor_b32_e32 v6, s3, v6
	v_cndmask_b32_e32 v7, v8, v9, vcc
	v_xor_b32_e32 v7, v7, v6
	v_sub_u32_e32 v10, v7, v6
	v_mad_u64_u32 v[8:9], s[10:11], s2, v10, v[0:1]
	v_ashrrev_i32_e32 v12, 31, v10
	v_ashrrev_i32_e32 v9, 31, v8
	v_mul_lo_u32 v13, v10, s13
	v_mad_u64_u32 v[6:7], s[10:11], v10, s12, 0
	v_mul_lo_u32 v12, v12, s12
	v_lshlrev_b64 v[8:9], 2, v[8:9]
	v_add3_u32 v7, v7, v13, v12
	v_add_co_u32_e32 v12, vcc, s18, v8
	v_addc_co_u32_e32 v13, vcc, v4, v9, vcc
	v_add_co_u32_e32 v8, vcc, s19, v8
	v_mad_u64_u32 v[10:11], s[10:11], s5, v10, v[2:3]
	v_lshlrev_b64 v[6:7], 2, v[6:7]
	v_addc_co_u32_e32 v9, vcc, v5, v9, vcc
	v_ashrrev_i32_e32 v11, 31, v10
	v_add_co_u32_e32 v6, vcc, s6, v6
	v_lshlrev_b64 v[10:11], 2, v[10:11]
	v_addc_co_u32_e32 v7, vcc, v3, v7, vcc
	v_add_co_u32_e32 v6, vcc, v6, v10
	v_addc_co_u32_e32 v7, vcc, v7, v11, vcc
	global_load_dword v14, v[12:13], off
	global_load_dword v15, v[8:9], off
	v_add_u32_e32 v0, s4, v0
	global_load_dwordx2 v[8:9], v[6:7], off
	v_cmp_le_i32_e32 vcc, s8, v0
	v_add_u32_e32 v2, s9, v2
	s_or_b64 s[0:1], vcc, s[0:1]
	s_waitcnt vmcnt(0)
	v_mul_f32_e32 v10, v15, v9
	v_mul_f32_e32 v11, v14, v9
	v_fma_f32 v10, v14, v8, -v10
	v_fmac_f32_e32 v11, v15, v8
	global_store_dwordx2 v[6:7], v[10:11], off
	s_andn2_b64 exec, exec, s[0:1]
	s_cbranch_execnz .LBB1_6
.LBB1_7:
	s_endpgm
	.section	.rodata,"a",@progbits
	.p2align	6, 0x0
	.amdhsa_kernel _ZN4vllm23rotary_embedding_kernelIfLb0EEEvPKlPT_S4_PKS3_illliii
		.amdhsa_group_segment_fixed_size 0
		.amdhsa_private_segment_fixed_size 0
		.amdhsa_kernarg_size 336
		.amdhsa_user_sgpr_count 6
		.amdhsa_user_sgpr_private_segment_buffer 1
		.amdhsa_user_sgpr_dispatch_ptr 0
		.amdhsa_user_sgpr_queue_ptr 0
		.amdhsa_user_sgpr_kernarg_segment_ptr 1
		.amdhsa_user_sgpr_dispatch_id 0
		.amdhsa_user_sgpr_flat_scratch_init 0
		.amdhsa_user_sgpr_kernarg_preload_length 0
		.amdhsa_user_sgpr_kernarg_preload_offset 0
		.amdhsa_user_sgpr_private_segment_size 0
		.amdhsa_uses_dynamic_stack 0
		.amdhsa_system_sgpr_private_segment_wavefront_offset 0
		.amdhsa_system_sgpr_workgroup_id_x 1
		.amdhsa_system_sgpr_workgroup_id_y 0
		.amdhsa_system_sgpr_workgroup_id_z 0
		.amdhsa_system_sgpr_workgroup_info 0
		.amdhsa_system_vgpr_workitem_id 0
		.amdhsa_next_free_vgpr 18
		.amdhsa_next_free_sgpr 30
		.amdhsa_accum_offset 20
		.amdhsa_reserve_vcc 1
		.amdhsa_reserve_flat_scratch 0
		.amdhsa_float_round_mode_32 0
		.amdhsa_float_round_mode_16_64 0
		.amdhsa_float_denorm_mode_32 3
		.amdhsa_float_denorm_mode_16_64 3
		.amdhsa_dx10_clamp 1
		.amdhsa_ieee_mode 1
		.amdhsa_fp16_overflow 0
		.amdhsa_tg_split 0
		.amdhsa_exception_fp_ieee_invalid_op 0
		.amdhsa_exception_fp_denorm_src 0
		.amdhsa_exception_fp_ieee_div_zero 0
		.amdhsa_exception_fp_ieee_overflow 0
		.amdhsa_exception_fp_ieee_underflow 0
		.amdhsa_exception_fp_ieee_inexact 0
		.amdhsa_exception_int_div_zero 0
	.end_amdhsa_kernel
	.section	.text._ZN4vllm23rotary_embedding_kernelIfLb0EEEvPKlPT_S4_PKS3_illliii,"axG",@progbits,_ZN4vllm23rotary_embedding_kernelIfLb0EEEvPKlPT_S4_PKS3_illliii,comdat
.Lfunc_end1:
	.size	_ZN4vllm23rotary_embedding_kernelIfLb0EEEvPKlPT_S4_PKS3_illliii, .Lfunc_end1-_ZN4vllm23rotary_embedding_kernelIfLb0EEEvPKlPT_S4_PKS3_illliii
                                        ; -- End function
	.section	.AMDGPU.csdata,"",@progbits
; Kernel info:
; codeLenInByte = 1016
; NumSgprs: 34
; NumVgprs: 18
; NumAgprs: 0
; TotalNumVgprs: 18
; ScratchSize: 0
; MemoryBound: 0
; FloatMode: 240
; IeeeMode: 1
; LDSByteSize: 0 bytes/workgroup (compile time only)
; SGPRBlocks: 4
; VGPRBlocks: 2
; NumSGPRsForWavesPerEU: 34
; NumVGPRsForWavesPerEU: 18
; AccumOffset: 20
; Occupancy: 8
; WaveLimiterHint : 1
; COMPUTE_PGM_RSRC2:SCRATCH_EN: 0
; COMPUTE_PGM_RSRC2:USER_SGPR: 6
; COMPUTE_PGM_RSRC2:TRAP_HANDLER: 0
; COMPUTE_PGM_RSRC2:TGID_X_EN: 1
; COMPUTE_PGM_RSRC2:TGID_Y_EN: 0
; COMPUTE_PGM_RSRC2:TGID_Z_EN: 0
; COMPUTE_PGM_RSRC2:TIDIG_COMP_CNT: 0
; COMPUTE_PGM_RSRC3_GFX90A:ACCUM_OFFSET: 4
; COMPUTE_PGM_RSRC3_GFX90A:TG_SPLIT: 0
	.section	.text._ZN4vllm23rotary_embedding_kernelIN3c104HalfELb1EEEvPKlPT_S6_PKS5_illliii,"axG",@progbits,_ZN4vllm23rotary_embedding_kernelIN3c104HalfELb1EEEvPKlPT_S6_PKS5_illliii,comdat
	.protected	_ZN4vllm23rotary_embedding_kernelIN3c104HalfELb1EEEvPKlPT_S6_PKS5_illliii ; -- Begin function _ZN4vllm23rotary_embedding_kernelIN3c104HalfELb1EEEvPKlPT_S6_PKS5_illliii
	.globl	_ZN4vllm23rotary_embedding_kernelIN3c104HalfELb1EEEvPKlPT_S6_PKS5_illliii
	.p2align	8
	.type	_ZN4vllm23rotary_embedding_kernelIN3c104HalfELb1EEEvPKlPT_S6_PKS5_illliii,@function
_ZN4vllm23rotary_embedding_kernelIN3c104HalfELb1EEEvPKlPT_S6_PKS5_illliii: ; @_ZN4vllm23rotary_embedding_kernelIN3c104HalfELb1EEEvPKlPT_S6_PKS5_illliii
; %bb.0:
	s_load_dword s22, s[4:5], 0x20
	s_load_dwordx2 s[8:9], s[4:5], 0x0
	s_load_dwordx4 s[0:3], s[4:5], 0x10
	s_ashr_i32 s7, s6, 31
	s_lshl_b64 s[10:11], s[6:7], 3
	s_waitcnt lgkmcnt(0)
	s_ashr_i32 s20, s22, 31
	s_add_u32 s16, s8, s10
	s_addc_u32 s17, s9, s11
	s_load_dwordx2 s[18:19], s[16:17], 0x0
	s_load_dwordx8 s[8:15], s[4:5], 0x28
	s_waitcnt lgkmcnt(0)
	s_mul_i32 s16, s18, s20
	s_mul_hi_u32 s17, s18, s22
	s_add_i32 s16, s17, s16
	s_mul_i32 s17, s19, s22
	s_add_i32 s17, s16, s17
	s_mul_i32 s16, s18, s22
	s_lshl_b64 s[16:17], s[16:17], 1
	s_add_u32 s20, s2, s16
	s_addc_u32 s21, s3, s17
	s_lshr_b32 s2, s22, 31
	s_add_i32 s22, s22, s2
	s_ashr_i32 s16, s22, 1
	s_ashr_i32 s17, s16, 31
	s_lshl_b64 s[2:3], s[16:17], 1
	s_add_u32 s17, s20, s2
	s_mul_i32 s14, s16, s14
	s_addc_u32 s22, s21, s3
	v_cmp_gt_i32_e32 vcc, s14, v0
	s_and_saveexec_b64 s[18:19], vcc
	s_cbranch_execz .LBB2_3
; %bb.1:
	s_load_dwordx2 s[24:25], s[4:5], 0x8
	s_load_dword s26, s[4:5], 0x5c
	s_mul_i32 s9, s6, s9
	s_mul_hi_u32 s23, s6, s8
	s_add_i32 s9, s23, s9
	s_mul_i32 s23, s7, s8
	s_add_i32 s9, s9, s23
	s_mul_i32 s8, s6, s8
	s_lshl_b64 s[8:9], s[8:9], 1
	s_waitcnt lgkmcnt(0)
	s_add_u32 s23, s24, s8
	s_addc_u32 s28, s25, s9
	s_abs_i32 s24, s16
	v_cvt_f32_u32_e32 v1, s24
	s_sub_i32 s8, 0, s24
	s_and_b32 s25, s26, 0xffff
	s_ashr_i32 s26, s16, 31
	v_rcp_iflag_f32_e32 v1, v1
	s_sub_i32 s27, 0, s16
	v_mov_b32_e32 v3, s28
	v_mov_b32_e32 v4, s21
	v_mul_f32_e32 v1, 0x4f7ffffe, v1
	v_cvt_u32_f32_e32 v1, v1
	v_mov_b32_e32 v5, s22
	v_mov_b32_e32 v6, s3
	v_mul_lo_u32 v2, s8, v1
	v_mul_hi_u32 v2, v1, v2
	v_add_u32_e32 v1, v1, v2
	s_mov_b64 s[8:9], 0
	v_mov_b32_e32 v2, v0
.LBB2_2:                                ; =>This Inner Loop Header: Depth=1
	v_sub_u32_e32 v8, 0, v2
	v_max_i32_e32 v8, v2, v8
	v_mul_hi_u32 v9, v8, v1
	v_mul_lo_u32 v10, v9, s24
	v_sub_u32_e32 v8, v8, v10
	v_add_u32_e32 v11, 1, v9
	v_cmp_le_u32_e32 vcc, s24, v8
	v_subrev_u32_e32 v10, s24, v8
	v_cndmask_b32_e32 v9, v9, v11, vcc
	v_cndmask_b32_e32 v8, v8, v10, vcc
	v_ashrrev_i32_e32 v7, 31, v2
	v_add_u32_e32 v10, 1, v9
	v_cmp_le_u32_e32 vcc, s24, v8
	v_xor_b32_e32 v7, s26, v7
	v_cndmask_b32_e32 v8, v9, v10, vcc
	v_xor_b32_e32 v8, v8, v7
	v_sub_u32_e32 v7, v8, v7
	v_mad_u64_u32 v[10:11], s[28:29], s27, v7, v[2:3]
	v_ashrrev_i32_e32 v11, 31, v10
	v_ashrrev_i32_e32 v12, 31, v7
	v_lshlrev_b64 v[10:11], 1, v[10:11]
	v_mul_lo_u32 v13, v7, s13
	v_mad_u64_u32 v[8:9], s[28:29], v7, s12, 0
	v_mul_lo_u32 v7, v12, s12
	v_add_co_u32_e32 v12, vcc, s20, v10
	v_add3_u32 v9, v9, v13, v7
	v_addc_co_u32_e32 v13, vcc, v4, v11, vcc
	v_add_co_u32_e32 v14, vcc, s17, v10
	v_lshlrev_b64 v[8:9], 1, v[8:9]
	v_addc_co_u32_e32 v15, vcc, v5, v11, vcc
	v_add_co_u32_e32 v7, vcc, s23, v8
	v_addc_co_u32_e32 v9, vcc, v3, v9, vcc
	v_add_co_u32_e32 v8, vcc, v7, v10
	;; [unrolled: 2-line block ×3, first 2 shown]
	global_load_ushort v16, v[12:13], off
	global_load_ushort v17, v[14:15], off
	v_addc_co_u32_e32 v11, vcc, v9, v6, vcc
	global_load_ushort v7, v[8:9], off
	global_load_ushort v12, v[10:11], off
	v_add_u32_e32 v2, s25, v2
	v_cmp_le_i32_e32 vcc, s14, v2
	s_or_b64 s[8:9], vcc, s[8:9]
	s_waitcnt vmcnt(0)
	v_mul_f16_e32 v13, v17, v12
	v_mul_f16_e32 v12, v16, v12
	v_fma_f16 v13, v16, v7, -v13
	v_fma_f16 v7, v17, v7, v12
	global_store_short v[8:9], v13, off
	global_store_short v[10:11], v7, off
	s_andn2_b64 exec, exec, s[8:9]
	s_cbranch_execnz .LBB2_2
.LBB2_3:
	s_or_b64 exec, exec, s[18:19]
	s_cmp_lg_u64 s[0:1], 0
	s_cbranch_scc0 .LBB2_7
; %bb.4:
	s_mul_i32 s8, s16, s15
	v_cmp_gt_i32_e32 vcc, s8, v0
	s_and_saveexec_b64 s[14:15], vcc
	s_cbranch_execz .LBB2_7
; %bb.5:
	s_mul_i32 s9, s6, s11
	s_mul_hi_u32 s11, s6, s10
	s_add_i32 s9, s11, s9
	s_mul_i32 s7, s7, s10
	s_add_i32 s7, s9, s7
	s_mul_i32 s6, s6, s10
	s_lshl_b64 s[6:7], s[6:7], 1
	s_add_u32 s6, s0, s6
	s_addc_u32 s10, s1, s7
	s_abs_i32 s7, s16
	v_cvt_f32_u32_e32 v1, s7
	s_load_dword s0, s[4:5], 0x5c
	s_ashr_i32 s5, s16, 31
	s_sub_i32 s9, 0, s16
	v_rcp_iflag_f32_e32 v1, v1
	v_mov_b32_e32 v3, s21
	s_waitcnt lgkmcnt(0)
	s_and_b32 s4, s0, 0xffff
	s_sub_i32 s0, 0, s7
	v_mul_f32_e32 v1, 0x4f7ffffe, v1
	v_cvt_u32_f32_e32 v1, v1
	v_mov_b32_e32 v4, s22
	v_mov_b32_e32 v5, s3
	v_mul_lo_u32 v2, s0, v1
	v_mul_hi_u32 v2, v1, v2
	v_add_u32_e32 v1, v1, v2
	s_mov_b64 s[0:1], 0
	v_mov_b32_e32 v2, s10
.LBB2_6:                                ; =>This Inner Loop Header: Depth=1
	v_sub_u32_e32 v7, 0, v0
	v_max_i32_e32 v7, v0, v7
	v_mul_hi_u32 v8, v7, v1
	v_mul_lo_u32 v9, v8, s7
	v_sub_u32_e32 v7, v7, v9
	v_add_u32_e32 v10, 1, v8
	v_cmp_le_u32_e32 vcc, s7, v7
	v_subrev_u32_e32 v9, s7, v7
	v_cndmask_b32_e32 v8, v8, v10, vcc
	v_cndmask_b32_e32 v7, v7, v9, vcc
	v_ashrrev_i32_e32 v6, 31, v0
	v_add_u32_e32 v9, 1, v8
	v_cmp_le_u32_e32 vcc, s7, v7
	v_xor_b32_e32 v6, s5, v6
	v_cndmask_b32_e32 v7, v8, v9, vcc
	v_xor_b32_e32 v7, v7, v6
	v_sub_u32_e32 v8, v7, v6
	v_ashrrev_i32_e32 v10, 31, v8
	v_mul_lo_u32 v11, v8, s13
	v_mad_u64_u32 v[6:7], s[10:11], v8, s12, 0
	v_mad_u64_u32 v[8:9], s[10:11], s9, v8, v[0:1]
	v_ashrrev_i32_e32 v9, 31, v8
	v_mul_lo_u32 v10, v10, s12
	v_lshlrev_b64 v[8:9], 1, v[8:9]
	v_add3_u32 v7, v7, v11, v10
	v_add_co_u32_e32 v10, vcc, s20, v8
	v_addc_co_u32_e32 v11, vcc, v3, v9, vcc
	v_add_co_u32_e32 v12, vcc, s17, v8
	v_lshlrev_b64 v[6:7], 1, v[6:7]
	v_addc_co_u32_e32 v13, vcc, v4, v9, vcc
	v_add_co_u32_e32 v6, vcc, s6, v6
	v_addc_co_u32_e32 v7, vcc, v2, v7, vcc
	v_add_co_u32_e32 v6, vcc, v6, v8
	;; [unrolled: 2-line block ×3, first 2 shown]
	global_load_ushort v14, v[10:11], off
	global_load_ushort v15, v[12:13], off
	v_addc_co_u32_e32 v9, vcc, v7, v5, vcc
	global_load_ushort v10, v[6:7], off
	global_load_ushort v11, v[8:9], off
	v_add_u32_e32 v0, s4, v0
	v_cmp_le_i32_e32 vcc, s8, v0
	s_or_b64 s[0:1], vcc, s[0:1]
	s_waitcnt vmcnt(0)
	v_mul_f16_e32 v12, v15, v11
	v_mul_f16_e32 v11, v14, v11
	v_fma_f16 v12, v14, v10, -v12
	v_fma_f16 v10, v15, v10, v11
	global_store_short v[6:7], v12, off
	global_store_short v[8:9], v10, off
	s_andn2_b64 exec, exec, s[0:1]
	s_cbranch_execnz .LBB2_6
.LBB2_7:
	s_endpgm
	.section	.rodata,"a",@progbits
	.p2align	6, 0x0
	.amdhsa_kernel _ZN4vllm23rotary_embedding_kernelIN3c104HalfELb1EEEvPKlPT_S6_PKS5_illliii
		.amdhsa_group_segment_fixed_size 0
		.amdhsa_private_segment_fixed_size 0
		.amdhsa_kernarg_size 336
		.amdhsa_user_sgpr_count 6
		.amdhsa_user_sgpr_private_segment_buffer 1
		.amdhsa_user_sgpr_dispatch_ptr 0
		.amdhsa_user_sgpr_queue_ptr 0
		.amdhsa_user_sgpr_kernarg_segment_ptr 1
		.amdhsa_user_sgpr_dispatch_id 0
		.amdhsa_user_sgpr_flat_scratch_init 0
		.amdhsa_user_sgpr_kernarg_preload_length 0
		.amdhsa_user_sgpr_kernarg_preload_offset 0
		.amdhsa_user_sgpr_private_segment_size 0
		.amdhsa_uses_dynamic_stack 0
		.amdhsa_system_sgpr_private_segment_wavefront_offset 0
		.amdhsa_system_sgpr_workgroup_id_x 1
		.amdhsa_system_sgpr_workgroup_id_y 0
		.amdhsa_system_sgpr_workgroup_id_z 0
		.amdhsa_system_sgpr_workgroup_info 0
		.amdhsa_system_vgpr_workitem_id 0
		.amdhsa_next_free_vgpr 18
		.amdhsa_next_free_sgpr 30
		.amdhsa_accum_offset 20
		.amdhsa_reserve_vcc 1
		.amdhsa_reserve_flat_scratch 0
		.amdhsa_float_round_mode_32 0
		.amdhsa_float_round_mode_16_64 0
		.amdhsa_float_denorm_mode_32 3
		.amdhsa_float_denorm_mode_16_64 3
		.amdhsa_dx10_clamp 1
		.amdhsa_ieee_mode 1
		.amdhsa_fp16_overflow 0
		.amdhsa_tg_split 0
		.amdhsa_exception_fp_ieee_invalid_op 0
		.amdhsa_exception_fp_denorm_src 0
		.amdhsa_exception_fp_ieee_div_zero 0
		.amdhsa_exception_fp_ieee_overflow 0
		.amdhsa_exception_fp_ieee_underflow 0
		.amdhsa_exception_fp_ieee_inexact 0
		.amdhsa_exception_int_div_zero 0
	.end_amdhsa_kernel
	.section	.text._ZN4vllm23rotary_embedding_kernelIN3c104HalfELb1EEEvPKlPT_S6_PKS5_illliii,"axG",@progbits,_ZN4vllm23rotary_embedding_kernelIN3c104HalfELb1EEEvPKlPT_S6_PKS5_illliii,comdat
.Lfunc_end2:
	.size	_ZN4vllm23rotary_embedding_kernelIN3c104HalfELb1EEEvPKlPT_S6_PKS5_illliii, .Lfunc_end2-_ZN4vllm23rotary_embedding_kernelIN3c104HalfELb1EEEvPKlPT_S6_PKS5_illliii
                                        ; -- End function
	.section	.AMDGPU.csdata,"",@progbits
; Kernel info:
; codeLenInByte = 1008
; NumSgprs: 34
; NumVgprs: 18
; NumAgprs: 0
; TotalNumVgprs: 18
; ScratchSize: 0
; MemoryBound: 0
; FloatMode: 240
; IeeeMode: 1
; LDSByteSize: 0 bytes/workgroup (compile time only)
; SGPRBlocks: 4
; VGPRBlocks: 2
; NumSGPRsForWavesPerEU: 34
; NumVGPRsForWavesPerEU: 18
; AccumOffset: 20
; Occupancy: 8
; WaveLimiterHint : 1
; COMPUTE_PGM_RSRC2:SCRATCH_EN: 0
; COMPUTE_PGM_RSRC2:USER_SGPR: 6
; COMPUTE_PGM_RSRC2:TRAP_HANDLER: 0
; COMPUTE_PGM_RSRC2:TGID_X_EN: 1
; COMPUTE_PGM_RSRC2:TGID_Y_EN: 0
; COMPUTE_PGM_RSRC2:TGID_Z_EN: 0
; COMPUTE_PGM_RSRC2:TIDIG_COMP_CNT: 0
; COMPUTE_PGM_RSRC3_GFX90A:ACCUM_OFFSET: 4
; COMPUTE_PGM_RSRC3_GFX90A:TG_SPLIT: 0
	.section	.text._ZN4vllm23rotary_embedding_kernelIN3c104HalfELb0EEEvPKlPT_S6_PKS5_illliii,"axG",@progbits,_ZN4vllm23rotary_embedding_kernelIN3c104HalfELb0EEEvPKlPT_S6_PKS5_illliii,comdat
	.protected	_ZN4vllm23rotary_embedding_kernelIN3c104HalfELb0EEEvPKlPT_S6_PKS5_illliii ; -- Begin function _ZN4vllm23rotary_embedding_kernelIN3c104HalfELb0EEEvPKlPT_S6_PKS5_illliii
	.globl	_ZN4vllm23rotary_embedding_kernelIN3c104HalfELb0EEEvPKlPT_S6_PKS5_illliii
	.p2align	8
	.type	_ZN4vllm23rotary_embedding_kernelIN3c104HalfELb0EEEvPKlPT_S6_PKS5_illliii,@function
_ZN4vllm23rotary_embedding_kernelIN3c104HalfELb0EEEvPKlPT_S6_PKS5_illliii: ; @_ZN4vllm23rotary_embedding_kernelIN3c104HalfELb0EEEvPKlPT_S6_PKS5_illliii
; %bb.0:
	s_load_dword s21, s[4:5], 0x20
	s_load_dwordx2 s[8:9], s[4:5], 0x0
	s_load_dwordx4 s[0:3], s[4:5], 0x10
	s_ashr_i32 s7, s6, 31
	s_lshl_b64 s[10:11], s[6:7], 3
	s_waitcnt lgkmcnt(0)
	s_ashr_i32 s20, s21, 31
	s_add_u32 s16, s8, s10
	s_addc_u32 s17, s9, s11
	s_load_dwordx2 s[18:19], s[16:17], 0x0
	s_load_dwordx8 s[8:15], s[4:5], 0x28
	s_waitcnt lgkmcnt(0)
	s_mul_i32 s16, s18, s20
	s_mul_hi_u32 s17, s18, s21
	s_add_i32 s16, s17, s16
	s_mul_i32 s17, s19, s21
	s_add_i32 s17, s16, s17
	s_mul_i32 s16, s18, s21
	s_lshl_b64 s[16:17], s[16:17], 1
	s_add_u32 s18, s2, s16
	s_addc_u32 s20, s3, s17
	s_lshr_b32 s2, s21, 31
	s_add_i32 s21, s21, s2
	s_ashr_i32 s2, s21, 1
	s_ashr_i32 s3, s2, 31
	s_lshl_b64 s[16:17], s[2:3], 1
	s_add_u32 s19, s18, s16
	s_mul_i32 s14, s2, s14
	s_addc_u32 s21, s20, s17
	v_cmp_gt_i32_e32 vcc, s14, v0
	s_and_saveexec_b64 s[16:17], vcc
	s_cbranch_execz .LBB3_3
; %bb.1:
	s_mul_i32 s9, s6, s9
	s_mul_hi_u32 s22, s6, s8
	s_add_i32 s9, s22, s9
	s_load_dwordx2 s[22:23], s[4:5], 0x8
	s_mul_i32 s24, s7, s8
	s_add_i32 s9, s9, s24
	s_load_dword s24, s[4:5], 0x5c
	s_mul_i32 s8, s6, s8
	s_lshl_b64 s[8:9], s[8:9], 1
	s_waitcnt lgkmcnt(0)
	s_add_u32 s22, s22, s8
	s_addc_u32 s28, s23, s9
	s_abs_i32 s23, s2
	v_cvt_f32_u32_e32 v1, s23
	s_sub_i32 s9, 0, s23
	s_and_b32 s24, s24, 0xffff
	s_lshl_b32 s8, s2, 1
	v_rcp_iflag_f32_e32 v1, v1
	s_sub_i32 s25, 0, s8
	s_lshl_b32 s26, s24, 1
	s_sub_i32 s27, 0, s2
	v_mul_f32_e32 v1, 0x4f7ffffe, v1
	v_cvt_u32_f32_e32 v1, v1
	v_mov_b32_e32 v3, s28
	v_mov_b32_e32 v5, s20
	;; [unrolled: 1-line block ×3, first 2 shown]
	v_mul_lo_u32 v2, s9, v1
	v_mul_hi_u32 v2, v1, v2
	v_add_u32_e32 v1, v1, v2
	v_lshlrev_b32_e32 v2, 1, v0
	s_mov_b64 s[8:9], 0
	v_mov_b32_e32 v4, v0
.LBB3_2:                                ; =>This Inner Loop Header: Depth=1
	v_sub_u32_e32 v8, 0, v4
	v_max_i32_e32 v8, v4, v8
	v_mul_hi_u32 v9, v8, v1
	v_mul_lo_u32 v10, v9, s23
	v_sub_u32_e32 v8, v8, v10
	v_add_u32_e32 v11, 1, v9
	v_cmp_le_u32_e32 vcc, s23, v8
	v_subrev_u32_e32 v10, s23, v8
	v_cndmask_b32_e32 v9, v9, v11, vcc
	v_cndmask_b32_e32 v8, v8, v10, vcc
	v_ashrrev_i32_e32 v7, 31, v4
	v_add_u32_e32 v10, 1, v9
	v_cmp_le_u32_e32 vcc, s23, v8
	v_xor_b32_e32 v7, s3, v7
	v_cndmask_b32_e32 v8, v9, v10, vcc
	v_xor_b32_e32 v8, v8, v7
	v_sub_u32_e32 v7, v8, v7
	v_mad_u64_u32 v[10:11], s[28:29], s27, v7, v[4:5]
	v_ashrrev_i32_e32 v11, 31, v10
	v_ashrrev_i32_e32 v14, 31, v7
	v_lshlrev_b64 v[10:11], 1, v[10:11]
	v_mul_lo_u32 v15, v7, s13
	v_mad_u64_u32 v[8:9], s[28:29], v7, s12, 0
	v_mad_u64_u32 v[12:13], s[28:29], s25, v7, v[2:3]
	v_mul_lo_u32 v7, v14, s12
	v_add_co_u32_e32 v14, vcc, s18, v10
	v_add3_u32 v9, v9, v15, v7
	v_addc_co_u32_e32 v15, vcc, v5, v11, vcc
	v_add_co_u32_e32 v10, vcc, s19, v10
	v_lshlrev_b64 v[8:9], 1, v[8:9]
	v_addc_co_u32_e32 v11, vcc, v6, v11, vcc
	v_ashrrev_i32_e32 v13, 31, v12
	v_add_co_u32_e32 v7, vcc, s22, v8
	v_lshlrev_b64 v[12:13], 1, v[12:13]
	v_addc_co_u32_e32 v9, vcc, v3, v9, vcc
	v_add_co_u32_e32 v8, vcc, v7, v12
	v_addc_co_u32_e32 v9, vcc, v9, v13, vcc
	global_load_ushort v16, v[14:15], off
	global_load_ushort v17, v[10:11], off
	global_load_dword v7, v[8:9], off
	v_add_u32_e32 v4, s24, v4
	v_cmp_le_i32_e32 vcc, s14, v4
	v_add_u32_e32 v2, s26, v2
	s_or_b64 s[8:9], vcc, s[8:9]
	s_waitcnt vmcnt(0)
	v_mul_f16_sdwa v10, v17, v7 dst_sel:DWORD dst_unused:UNUSED_PAD src0_sel:DWORD src1_sel:WORD_1
	v_mul_f16_sdwa v11, v16, v7 dst_sel:DWORD dst_unused:UNUSED_PAD src0_sel:DWORD src1_sel:WORD_1
	v_fma_f16 v10, v16, v7, -v10
	v_fma_f16 v7, v17, v7, v11
	v_pack_b32_f16 v7, v10, v7
	global_store_dword v[8:9], v7, off
	s_andn2_b64 exec, exec, s[8:9]
	s_cbranch_execnz .LBB3_2
.LBB3_3:
	s_or_b64 exec, exec, s[16:17]
	s_cmp_lg_u64 s[0:1], 0
	s_cbranch_scc0 .LBB3_7
; %bb.4:
	s_mul_i32 s8, s2, s15
	v_cmp_gt_i32_e32 vcc, s8, v0
	s_and_saveexec_b64 s[14:15], vcc
	s_cbranch_execz .LBB3_7
; %bb.5:
	s_mul_i32 s9, s6, s11
	s_mul_hi_u32 s11, s6, s10
	s_add_i32 s9, s11, s9
	s_mul_i32 s7, s7, s10
	s_add_i32 s7, s9, s7
	s_mul_i32 s6, s6, s10
	s_lshl_b64 s[6:7], s[6:7], 1
	s_add_u32 s6, s0, s6
	s_addc_u32 s10, s1, s7
	s_abs_i32 s7, s2
	v_cvt_f32_u32_e32 v1, s7
	s_load_dword s0, s[4:5], 0x5c
	s_sub_i32 s1, 0, s7
	v_mov_b32_e32 v3, s10
	v_rcp_iflag_f32_e32 v1, v1
	v_mov_b32_e32 v4, s20
	s_waitcnt lgkmcnt(0)
	s_and_b32 s4, s0, 0xffff
	s_lshl_b32 s0, s2, 1
	v_mul_f32_e32 v1, 0x4f7ffffe, v1
	v_cvt_u32_f32_e32 v1, v1
	s_sub_i32 s5, 0, s0
	s_lshl_b32 s9, s4, 1
	s_sub_i32 s2, 0, s2
	v_mul_lo_u32 v2, s1, v1
	v_mul_hi_u32 v2, v1, v2
	v_add_u32_e32 v1, v1, v2
	v_lshlrev_b32_e32 v2, 1, v0
	s_mov_b64 s[0:1], 0
	v_mov_b32_e32 v5, s21
.LBB3_6:                                ; =>This Inner Loop Header: Depth=1
	v_sub_u32_e32 v7, 0, v0
	v_max_i32_e32 v7, v0, v7
	v_mul_hi_u32 v8, v7, v1
	v_mul_lo_u32 v9, v8, s7
	v_sub_u32_e32 v7, v7, v9
	v_add_u32_e32 v10, 1, v8
	v_cmp_le_u32_e32 vcc, s7, v7
	v_subrev_u32_e32 v9, s7, v7
	v_cndmask_b32_e32 v8, v8, v10, vcc
	v_cndmask_b32_e32 v7, v7, v9, vcc
	v_ashrrev_i32_e32 v6, 31, v0
	v_add_u32_e32 v9, 1, v8
	v_cmp_le_u32_e32 vcc, s7, v7
	v_xor_b32_e32 v6, s3, v6
	v_cndmask_b32_e32 v7, v8, v9, vcc
	v_xor_b32_e32 v7, v7, v6
	v_sub_u32_e32 v10, v7, v6
	v_mad_u64_u32 v[8:9], s[10:11], s2, v10, v[0:1]
	v_ashrrev_i32_e32 v12, 31, v10
	v_ashrrev_i32_e32 v9, 31, v8
	v_mul_lo_u32 v13, v10, s13
	v_mad_u64_u32 v[6:7], s[10:11], v10, s12, 0
	v_mul_lo_u32 v12, v12, s12
	v_lshlrev_b64 v[8:9], 1, v[8:9]
	v_add3_u32 v7, v7, v13, v12
	v_add_co_u32_e32 v12, vcc, s18, v8
	v_addc_co_u32_e32 v13, vcc, v4, v9, vcc
	v_add_co_u32_e32 v8, vcc, s19, v8
	v_mad_u64_u32 v[10:11], s[10:11], s5, v10, v[2:3]
	v_lshlrev_b64 v[6:7], 1, v[6:7]
	v_addc_co_u32_e32 v9, vcc, v5, v9, vcc
	v_ashrrev_i32_e32 v11, 31, v10
	v_add_co_u32_e32 v6, vcc, s6, v6
	v_lshlrev_b64 v[10:11], 1, v[10:11]
	v_addc_co_u32_e32 v7, vcc, v3, v7, vcc
	v_add_co_u32_e32 v6, vcc, v6, v10
	v_addc_co_u32_e32 v7, vcc, v7, v11, vcc
	global_load_ushort v14, v[12:13], off
	global_load_ushort v15, v[8:9], off
	v_add_u32_e32 v0, s4, v0
	global_load_dword v8, v[6:7], off
	v_cmp_le_i32_e32 vcc, s8, v0
	v_add_u32_e32 v2, s9, v2
	s_or_b64 s[0:1], vcc, s[0:1]
	s_waitcnt vmcnt(0)
	v_mul_f16_sdwa v9, v15, v8 dst_sel:DWORD dst_unused:UNUSED_PAD src0_sel:DWORD src1_sel:WORD_1
	v_mul_f16_sdwa v10, v14, v8 dst_sel:DWORD dst_unused:UNUSED_PAD src0_sel:DWORD src1_sel:WORD_1
	v_fma_f16 v9, v14, v8, -v9
	v_fma_f16 v8, v15, v8, v10
	v_pack_b32_f16 v8, v9, v8
	global_store_dword v[6:7], v8, off
	s_andn2_b64 exec, exec, s[0:1]
	s_cbranch_execnz .LBB3_6
.LBB3_7:
	s_endpgm
	.section	.rodata,"a",@progbits
	.p2align	6, 0x0
	.amdhsa_kernel _ZN4vllm23rotary_embedding_kernelIN3c104HalfELb0EEEvPKlPT_S6_PKS5_illliii
		.amdhsa_group_segment_fixed_size 0
		.amdhsa_private_segment_fixed_size 0
		.amdhsa_kernarg_size 336
		.amdhsa_user_sgpr_count 6
		.amdhsa_user_sgpr_private_segment_buffer 1
		.amdhsa_user_sgpr_dispatch_ptr 0
		.amdhsa_user_sgpr_queue_ptr 0
		.amdhsa_user_sgpr_kernarg_segment_ptr 1
		.amdhsa_user_sgpr_dispatch_id 0
		.amdhsa_user_sgpr_flat_scratch_init 0
		.amdhsa_user_sgpr_kernarg_preload_length 0
		.amdhsa_user_sgpr_kernarg_preload_offset 0
		.amdhsa_user_sgpr_private_segment_size 0
		.amdhsa_uses_dynamic_stack 0
		.amdhsa_system_sgpr_private_segment_wavefront_offset 0
		.amdhsa_system_sgpr_workgroup_id_x 1
		.amdhsa_system_sgpr_workgroup_id_y 0
		.amdhsa_system_sgpr_workgroup_id_z 0
		.amdhsa_system_sgpr_workgroup_info 0
		.amdhsa_system_vgpr_workitem_id 0
		.amdhsa_next_free_vgpr 18
		.amdhsa_next_free_sgpr 30
		.amdhsa_accum_offset 20
		.amdhsa_reserve_vcc 1
		.amdhsa_reserve_flat_scratch 0
		.amdhsa_float_round_mode_32 0
		.amdhsa_float_round_mode_16_64 0
		.amdhsa_float_denorm_mode_32 3
		.amdhsa_float_denorm_mode_16_64 3
		.amdhsa_dx10_clamp 1
		.amdhsa_ieee_mode 1
		.amdhsa_fp16_overflow 0
		.amdhsa_tg_split 0
		.amdhsa_exception_fp_ieee_invalid_op 0
		.amdhsa_exception_fp_denorm_src 0
		.amdhsa_exception_fp_ieee_div_zero 0
		.amdhsa_exception_fp_ieee_overflow 0
		.amdhsa_exception_fp_ieee_underflow 0
		.amdhsa_exception_fp_ieee_inexact 0
		.amdhsa_exception_int_div_zero 0
	.end_amdhsa_kernel
	.section	.text._ZN4vllm23rotary_embedding_kernelIN3c104HalfELb0EEEvPKlPT_S6_PKS5_illliii,"axG",@progbits,_ZN4vllm23rotary_embedding_kernelIN3c104HalfELb0EEEvPKlPT_S6_PKS5_illliii,comdat
.Lfunc_end3:
	.size	_ZN4vllm23rotary_embedding_kernelIN3c104HalfELb0EEEvPKlPT_S6_PKS5_illliii, .Lfunc_end3-_ZN4vllm23rotary_embedding_kernelIN3c104HalfELb0EEEvPKlPT_S6_PKS5_illliii
                                        ; -- End function
	.section	.AMDGPU.csdata,"",@progbits
; Kernel info:
; codeLenInByte = 1056
; NumSgprs: 34
; NumVgprs: 18
; NumAgprs: 0
; TotalNumVgprs: 18
; ScratchSize: 0
; MemoryBound: 0
; FloatMode: 240
; IeeeMode: 1
; LDSByteSize: 0 bytes/workgroup (compile time only)
; SGPRBlocks: 4
; VGPRBlocks: 2
; NumSGPRsForWavesPerEU: 34
; NumVGPRsForWavesPerEU: 18
; AccumOffset: 20
; Occupancy: 8
; WaveLimiterHint : 1
; COMPUTE_PGM_RSRC2:SCRATCH_EN: 0
; COMPUTE_PGM_RSRC2:USER_SGPR: 6
; COMPUTE_PGM_RSRC2:TRAP_HANDLER: 0
; COMPUTE_PGM_RSRC2:TGID_X_EN: 1
; COMPUTE_PGM_RSRC2:TGID_Y_EN: 0
; COMPUTE_PGM_RSRC2:TGID_Z_EN: 0
; COMPUTE_PGM_RSRC2:TIDIG_COMP_CNT: 0
; COMPUTE_PGM_RSRC3_GFX90A:ACCUM_OFFSET: 4
; COMPUTE_PGM_RSRC3_GFX90A:TG_SPLIT: 0
	.section	.text._ZN4vllm23rotary_embedding_kernelIN3c108BFloat16ELb1EEEvPKlPT_S6_PKS5_illliii,"axG",@progbits,_ZN4vllm23rotary_embedding_kernelIN3c108BFloat16ELb1EEEvPKlPT_S6_PKS5_illliii,comdat
	.protected	_ZN4vllm23rotary_embedding_kernelIN3c108BFloat16ELb1EEEvPKlPT_S6_PKS5_illliii ; -- Begin function _ZN4vllm23rotary_embedding_kernelIN3c108BFloat16ELb1EEEvPKlPT_S6_PKS5_illliii
	.globl	_ZN4vllm23rotary_embedding_kernelIN3c108BFloat16ELb1EEEvPKlPT_S6_PKS5_illliii
	.p2align	8
	.type	_ZN4vllm23rotary_embedding_kernelIN3c108BFloat16ELb1EEEvPKlPT_S6_PKS5_illliii,@function
_ZN4vllm23rotary_embedding_kernelIN3c108BFloat16ELb1EEEvPKlPT_S6_PKS5_illliii: ; @_ZN4vllm23rotary_embedding_kernelIN3c108BFloat16ELb1EEEvPKlPT_S6_PKS5_illliii
; %bb.0:
	s_load_dword s20, s[4:5], 0x20
	s_load_dwordx2 s[0:1], s[4:5], 0x0
	s_load_dwordx4 s[16:19], s[4:5], 0x10
	s_ashr_i32 s7, s6, 31
	s_lshl_b64 s[2:3], s[6:7], 3
	s_waitcnt lgkmcnt(0)
	s_ashr_i32 s21, s20, 31
	s_add_u32 s0, s0, s2
	s_addc_u32 s1, s1, s3
	s_load_dwordx2 s[2:3], s[0:1], 0x0
	s_load_dwordx8 s[8:15], s[4:5], 0x28
	s_waitcnt lgkmcnt(0)
	s_mul_i32 s0, s2, s21
	s_mul_hi_u32 s1, s2, s20
	s_add_i32 s0, s1, s0
	s_mul_i32 s1, s3, s20
	s_add_i32 s1, s0, s1
	s_mul_i32 s0, s2, s20
	s_lshl_b64 s[0:1], s[0:1], 1
	s_add_u32 s26, s18, s0
	s_addc_u32 s27, s19, s1
	s_lshr_b32 s0, s20, 31
	s_add_i32 s20, s20, s0
	s_ashr_i32 s20, s20, 1
	s_ashr_i32 s21, s20, 31
	s_lshl_b64 s[18:19], s[20:21], 1
	s_add_u32 s21, s26, s18
	s_mul_i32 s14, s20, s14
	s_addc_u32 s28, s27, s19
	v_cmp_gt_i32_e32 vcc, s14, v0
	s_and_saveexec_b64 s[22:23], vcc
	s_cbranch_execz .LBB4_3
; %bb.1:
	s_mul_i32 s0, s6, s9
	s_mul_hi_u32 s1, s6, s8
	s_add_i32 s2, s1, s0
	s_load_dwordx2 s[0:1], s[4:5], 0x8
	s_mul_i32 s3, s7, s8
	s_add_i32 s3, s2, s3
	s_mul_i32 s2, s6, s8
	s_load_dword s8, s[4:5], 0x5c
	s_lshl_b64 s[2:3], s[2:3], 1
	s_waitcnt lgkmcnt(0)
	s_add_u32 s29, s0, s2
	s_addc_u32 s0, s1, s3
	s_abs_i32 s30, s20
	v_cvt_f32_u32_e32 v1, s30
	s_sub_i32 s1, 0, s30
	s_and_b32 s31, s8, 0xffff
	s_ashr_i32 s33, s20, 31
	v_rcp_iflag_f32_e32 v1, v1
	s_sub_i32 s34, 0, s20
	s_mov_b64 s[24:25], 0
	v_mov_b32_e32 v3, s0
	v_mul_f32_e32 v1, 0x4f7ffffe, v1
	v_cvt_u32_f32_e32 v1, v1
	v_mov_b32_e32 v4, s27
	v_mov_b32_e32 v5, s28
	s_movk_i32 s35, 0x7fff
	v_mul_lo_u32 v2, s1, v1
	v_mul_hi_u32 v2, v1, v2
	v_add_u32_e32 v1, v1, v2
	v_mov_b32_e32 v6, 0x7fc00000
	v_mov_b32_e32 v7, 0x7fc0
	;; [unrolled: 1-line block ×4, first 2 shown]
.LBB4_2:                                ; =>This Inner Loop Header: Depth=1
	v_sub_u32_e32 v10, 0, v2
	v_max_i32_e32 v10, v2, v10
	v_mul_hi_u32 v11, v10, v1
	v_mul_lo_u32 v12, v11, s30
	v_sub_u32_e32 v10, v10, v12
	v_add_u32_e32 v13, 1, v11
	v_cmp_le_u32_e32 vcc, s30, v10
	v_subrev_u32_e32 v12, s30, v10
	v_cndmask_b32_e32 v11, v11, v13, vcc
	v_cndmask_b32_e32 v10, v10, v12, vcc
	v_ashrrev_i32_e32 v9, 31, v2
	v_add_u32_e32 v12, 1, v11
	v_cmp_le_u32_e32 vcc, s30, v10
	v_xor_b32_e32 v9, s33, v9
	v_cndmask_b32_e32 v10, v11, v12, vcc
	v_xor_b32_e32 v10, v10, v9
	v_sub_u32_e32 v9, v10, v9
	v_mad_u64_u32 v[12:13], s[0:1], s34, v9, v[2:3]
	v_ashrrev_i32_e32 v13, 31, v12
	v_ashrrev_i32_e32 v14, 31, v9
	v_lshlrev_b64 v[12:13], 1, v[12:13]
	v_mul_lo_u32 v15, v9, s13
	v_mad_u64_u32 v[10:11], s[0:1], v9, s12, 0
	v_mul_lo_u32 v9, v14, s12
	v_add_co_u32_e32 v14, vcc, s26, v12
	v_add3_u32 v11, v11, v15, v9
	v_addc_co_u32_e32 v15, vcc, v4, v13, vcc
	v_add_co_u32_e32 v16, vcc, s21, v12
	v_lshlrev_b64 v[10:11], 1, v[10:11]
	v_addc_co_u32_e32 v17, vcc, v5, v13, vcc
	v_add_co_u32_e32 v9, vcc, s29, v10
	v_addc_co_u32_e32 v11, vcc, v3, v11, vcc
	v_add_co_u32_e32 v10, vcc, v9, v12
	v_addc_co_u32_e32 v11, vcc, v11, v13, vcc
	global_load_ushort v18, v[16:17], off
	global_load_ushort v19, v[14:15], off
	v_add_co_u32_e32 v12, vcc, s18, v10
	v_addc_co_u32_e32 v13, vcc, v11, v8, vcc
	global_load_ushort v9, v[10:11], off
	global_load_ushort v20, v[12:13], off
	v_add_u32_e32 v2, s31, v2
	v_cmp_le_i32_e32 vcc, s14, v2
	s_or_b64 s[24:25], vcc, s[24:25]
	s_waitcnt vmcnt(3)
	v_lshlrev_b32_e32 v14, 16, v18
	s_waitcnt vmcnt(2)
	v_lshlrev_b32_e32 v15, 16, v19
	v_mov_b32_e32 v16, v15
	v_mov_b32_e32 v17, v14
	s_waitcnt vmcnt(1)
	v_lshlrev_b32_e32 v18, 16, v9
	s_waitcnt vmcnt(0)
	v_lshlrev_b32_e32 v19, 16, v20
	v_pk_mul_f32 v[16:17], v[16:17], v[18:19]
	v_pk_mul_f32 v[14:15], v[14:15], v[18:19]
	v_bfe_u32 v9, v16, 16, 1
	v_bfe_u32 v18, v17, 16, 1
	;; [unrolled: 1-line block ×4, first 2 shown]
	v_add3_u32 v18, v17, v18, s35
	v_add3_u32 v9, v16, v9, s35
	;; [unrolled: 1-line block ×4, first 2 shown]
	v_and_b32_e32 v9, 0xffff0000, v9
	v_and_b32_e32 v18, 0xffff0000, v18
	v_cmp_o_f32_e32 vcc, v16, v16
	v_cmp_o_f32_e64 s[8:9], v17, v17
	v_and_b32_e32 v16, 0xffff0000, v19
	v_and_b32_e32 v19, 0xffff0000, v20
	v_cmp_o_f32_e64 s[0:1], v15, v15
	v_cmp_o_f32_e64 s[2:3], v14, v14
	v_cndmask_b32_e64 v14, v6, v18, s[8:9]
	v_cndmask_b32_e32 v9, v6, v9, vcc
	v_cndmask_b32_e64 v15, v6, v19, s[0:1]
	v_cndmask_b32_e64 v16, v6, v16, s[2:3]
	v_sub_f32_e32 v9, v9, v14
	v_add_f32_e32 v14, v16, v15
	v_bfe_u32 v15, v9, 16, 1
	v_bfe_u32 v16, v14, 16, 1
	v_add3_u32 v15, v9, v15, s35
	v_add3_u32 v16, v14, v16, s35
	v_lshrrev_b32_e32 v15, 16, v15
	v_cmp_o_f32_e64 s[0:1], v9, v9
	v_lshrrev_b32_e32 v16, 16, v16
	v_cmp_o_f32_e32 vcc, v14, v14
	v_cndmask_b32_e64 v9, v7, v15, s[0:1]
	v_cndmask_b32_e32 v14, v7, v16, vcc
	global_store_short v[10:11], v9, off
	global_store_short v[12:13], v14, off
	s_andn2_b64 exec, exec, s[24:25]
	s_cbranch_execnz .LBB4_2
.LBB4_3:
	s_or_b64 exec, exec, s[22:23]
	s_cmp_lg_u64 s[16:17], 0
	s_cbranch_scc0 .LBB4_7
; %bb.4:
	s_mul_i32 s8, s20, s15
	v_cmp_gt_i32_e32 vcc, s8, v0
	s_and_saveexec_b64 s[0:1], vcc
	s_cbranch_execz .LBB4_7
; %bb.5:
	s_mul_i32 s0, s6, s11
	s_mul_hi_u32 s1, s6, s10
	s_add_i32 s0, s1, s0
	s_mul_i32 s1, s7, s10
	s_add_i32 s1, s0, s1
	s_mul_i32 s0, s6, s10
	s_lshl_b64 s[0:1], s[0:1], 1
	s_add_u32 s9, s16, s0
	s_addc_u32 s0, s17, s1
	s_abs_i32 s10, s20
	v_cvt_f32_u32_e32 v1, s10
	s_load_dword s1, s[4:5], 0x5c
	s_ashr_i32 s14, s20, 31
	s_sub_i32 s15, 0, s20
	v_rcp_iflag_f32_e32 v1, v1
	s_mov_b64 s[6:7], 0
	s_waitcnt lgkmcnt(0)
	s_and_b32 s11, s1, 0xffff
	s_sub_i32 s1, 0, s10
	v_mul_f32_e32 v1, 0x4f7ffffe, v1
	v_cvt_u32_f32_e32 v1, v1
	v_mov_b32_e32 v3, s27
	v_mov_b32_e32 v4, s28
	;; [unrolled: 1-line block ×3, first 2 shown]
	v_mul_lo_u32 v2, s1, v1
	v_mul_hi_u32 v2, v1, v2
	v_add_u32_e32 v1, v1, v2
	v_mov_b32_e32 v2, s0
	s_movk_i32 s16, 0x7fff
	v_mov_b32_e32 v6, 0x7fc00000
	v_mov_b32_e32 v7, 0x7fc0
.LBB4_6:                                ; =>This Inner Loop Header: Depth=1
	v_sub_u32_e32 v9, 0, v0
	v_max_i32_e32 v9, v0, v9
	v_mul_hi_u32 v10, v9, v1
	v_mul_lo_u32 v11, v10, s10
	v_sub_u32_e32 v9, v9, v11
	v_add_u32_e32 v12, 1, v10
	v_cmp_le_u32_e32 vcc, s10, v9
	v_subrev_u32_e32 v11, s10, v9
	v_cndmask_b32_e32 v10, v10, v12, vcc
	v_cndmask_b32_e32 v9, v9, v11, vcc
	v_ashrrev_i32_e32 v8, 31, v0
	v_add_u32_e32 v11, 1, v10
	v_cmp_le_u32_e32 vcc, s10, v9
	v_xor_b32_e32 v8, s14, v8
	v_cndmask_b32_e32 v9, v10, v11, vcc
	v_xor_b32_e32 v9, v9, v8
	v_sub_u32_e32 v10, v9, v8
	v_ashrrev_i32_e32 v12, 31, v10
	v_mul_lo_u32 v13, v10, s13
	v_mad_u64_u32 v[8:9], s[0:1], v10, s12, 0
	v_mad_u64_u32 v[10:11], s[0:1], s15, v10, v[0:1]
	v_ashrrev_i32_e32 v11, 31, v10
	v_mul_lo_u32 v12, v12, s12
	v_lshlrev_b64 v[10:11], 1, v[10:11]
	v_add3_u32 v9, v9, v13, v12
	v_add_co_u32_e32 v12, vcc, s26, v10
	v_addc_co_u32_e32 v13, vcc, v3, v11, vcc
	v_add_co_u32_e32 v14, vcc, s21, v10
	v_lshlrev_b64 v[8:9], 1, v[8:9]
	v_addc_co_u32_e32 v15, vcc, v4, v11, vcc
	v_add_co_u32_e32 v8, vcc, s9, v8
	v_addc_co_u32_e32 v9, vcc, v2, v9, vcc
	v_add_co_u32_e32 v8, vcc, v8, v10
	v_addc_co_u32_e32 v9, vcc, v9, v11, vcc
	global_load_ushort v16, v[14:15], off
	global_load_ushort v17, v[12:13], off
	v_add_co_u32_e32 v10, vcc, s18, v8
	v_addc_co_u32_e32 v11, vcc, v9, v5, vcc
	global_load_ushort v18, v[8:9], off
	global_load_ushort v19, v[10:11], off
	v_add_u32_e32 v0, s11, v0
	v_cmp_le_i32_e32 vcc, s8, v0
	s_or_b64 s[6:7], vcc, s[6:7]
	s_waitcnt vmcnt(3)
	v_lshlrev_b32_e32 v12, 16, v16
	s_waitcnt vmcnt(2)
	v_lshlrev_b32_e32 v13, 16, v17
	v_mov_b32_e32 v14, v13
	v_mov_b32_e32 v15, v12
	s_waitcnt vmcnt(1)
	v_lshlrev_b32_e32 v16, 16, v18
	s_waitcnt vmcnt(0)
	v_lshlrev_b32_e32 v17, 16, v19
	v_pk_mul_f32 v[14:15], v[14:15], v[16:17]
	v_pk_mul_f32 v[12:13], v[12:13], v[16:17]
	v_bfe_u32 v16, v14, 16, 1
	v_bfe_u32 v17, v15, 16, 1
	;; [unrolled: 1-line block ×4, first 2 shown]
	v_add3_u32 v17, v15, v17, s16
	v_add3_u32 v16, v14, v16, s16
	;; [unrolled: 1-line block ×4, first 2 shown]
	v_and_b32_e32 v16, 0xffff0000, v16
	v_and_b32_e32 v17, 0xffff0000, v17
	v_cmp_o_f32_e32 vcc, v14, v14
	v_cmp_o_f32_e64 s[4:5], v15, v15
	v_and_b32_e32 v14, 0xffff0000, v18
	v_and_b32_e32 v18, 0xffff0000, v19
	v_cmp_o_f32_e64 s[0:1], v13, v13
	v_cmp_o_f32_e64 s[2:3], v12, v12
	v_cndmask_b32_e64 v12, v6, v17, s[4:5]
	v_cndmask_b32_e32 v13, v6, v16, vcc
	v_cndmask_b32_e64 v15, v6, v18, s[0:1]
	v_cndmask_b32_e64 v14, v6, v14, s[2:3]
	v_sub_f32_e32 v12, v13, v12
	v_add_f32_e32 v13, v14, v15
	v_bfe_u32 v14, v12, 16, 1
	v_bfe_u32 v15, v13, 16, 1
	v_add3_u32 v14, v12, v14, s16
	v_add3_u32 v15, v13, v15, s16
	v_lshrrev_b32_e32 v14, 16, v14
	v_cmp_o_f32_e64 s[0:1], v12, v12
	v_lshrrev_b32_e32 v15, 16, v15
	v_cmp_o_f32_e32 vcc, v13, v13
	v_cndmask_b32_e64 v12, v7, v14, s[0:1]
	v_cndmask_b32_e32 v13, v7, v15, vcc
	global_store_short v[8:9], v12, off
	global_store_short v[10:11], v13, off
	s_andn2_b64 exec, exec, s[6:7]
	s_cbranch_execnz .LBB4_6
.LBB4_7:
	s_endpgm
	.section	.rodata,"a",@progbits
	.p2align	6, 0x0
	.amdhsa_kernel _ZN4vllm23rotary_embedding_kernelIN3c108BFloat16ELb1EEEvPKlPT_S6_PKS5_illliii
		.amdhsa_group_segment_fixed_size 0
		.amdhsa_private_segment_fixed_size 0
		.amdhsa_kernarg_size 336
		.amdhsa_user_sgpr_count 6
		.amdhsa_user_sgpr_private_segment_buffer 1
		.amdhsa_user_sgpr_dispatch_ptr 0
		.amdhsa_user_sgpr_queue_ptr 0
		.amdhsa_user_sgpr_kernarg_segment_ptr 1
		.amdhsa_user_sgpr_dispatch_id 0
		.amdhsa_user_sgpr_flat_scratch_init 0
		.amdhsa_user_sgpr_kernarg_preload_length 0
		.amdhsa_user_sgpr_kernarg_preload_offset 0
		.amdhsa_user_sgpr_private_segment_size 0
		.amdhsa_uses_dynamic_stack 0
		.amdhsa_system_sgpr_private_segment_wavefront_offset 0
		.amdhsa_system_sgpr_workgroup_id_x 1
		.amdhsa_system_sgpr_workgroup_id_y 0
		.amdhsa_system_sgpr_workgroup_id_z 0
		.amdhsa_system_sgpr_workgroup_info 0
		.amdhsa_system_vgpr_workitem_id 0
		.amdhsa_next_free_vgpr 21
		.amdhsa_next_free_sgpr 36
		.amdhsa_accum_offset 24
		.amdhsa_reserve_vcc 1
		.amdhsa_reserve_flat_scratch 0
		.amdhsa_float_round_mode_32 0
		.amdhsa_float_round_mode_16_64 0
		.amdhsa_float_denorm_mode_32 3
		.amdhsa_float_denorm_mode_16_64 3
		.amdhsa_dx10_clamp 1
		.amdhsa_ieee_mode 1
		.amdhsa_fp16_overflow 0
		.amdhsa_tg_split 0
		.amdhsa_exception_fp_ieee_invalid_op 0
		.amdhsa_exception_fp_denorm_src 0
		.amdhsa_exception_fp_ieee_div_zero 0
		.amdhsa_exception_fp_ieee_overflow 0
		.amdhsa_exception_fp_ieee_underflow 0
		.amdhsa_exception_fp_ieee_inexact 0
		.amdhsa_exception_int_div_zero 0
	.end_amdhsa_kernel
	.section	.text._ZN4vllm23rotary_embedding_kernelIN3c108BFloat16ELb1EEEvPKlPT_S6_PKS5_illliii,"axG",@progbits,_ZN4vllm23rotary_embedding_kernelIN3c108BFloat16ELb1EEEvPKlPT_S6_PKS5_illliii,comdat
.Lfunc_end4:
	.size	_ZN4vllm23rotary_embedding_kernelIN3c108BFloat16ELb1EEEvPKlPT_S6_PKS5_illliii, .Lfunc_end4-_ZN4vllm23rotary_embedding_kernelIN3c108BFloat16ELb1EEEvPKlPT_S6_PKS5_illliii
                                        ; -- End function
	.section	.AMDGPU.csdata,"",@progbits
; Kernel info:
; codeLenInByte = 1552
; NumSgprs: 40
; NumVgprs: 21
; NumAgprs: 0
; TotalNumVgprs: 21
; ScratchSize: 0
; MemoryBound: 0
; FloatMode: 240
; IeeeMode: 1
; LDSByteSize: 0 bytes/workgroup (compile time only)
; SGPRBlocks: 4
; VGPRBlocks: 2
; NumSGPRsForWavesPerEU: 40
; NumVGPRsForWavesPerEU: 21
; AccumOffset: 24
; Occupancy: 8
; WaveLimiterHint : 1
; COMPUTE_PGM_RSRC2:SCRATCH_EN: 0
; COMPUTE_PGM_RSRC2:USER_SGPR: 6
; COMPUTE_PGM_RSRC2:TRAP_HANDLER: 0
; COMPUTE_PGM_RSRC2:TGID_X_EN: 1
; COMPUTE_PGM_RSRC2:TGID_Y_EN: 0
; COMPUTE_PGM_RSRC2:TGID_Z_EN: 0
; COMPUTE_PGM_RSRC2:TIDIG_COMP_CNT: 0
; COMPUTE_PGM_RSRC3_GFX90A:ACCUM_OFFSET: 5
; COMPUTE_PGM_RSRC3_GFX90A:TG_SPLIT: 0
	.section	.text._ZN4vllm23rotary_embedding_kernelIN3c108BFloat16ELb0EEEvPKlPT_S6_PKS5_illliii,"axG",@progbits,_ZN4vllm23rotary_embedding_kernelIN3c108BFloat16ELb0EEEvPKlPT_S6_PKS5_illliii,comdat
	.protected	_ZN4vllm23rotary_embedding_kernelIN3c108BFloat16ELb0EEEvPKlPT_S6_PKS5_illliii ; -- Begin function _ZN4vllm23rotary_embedding_kernelIN3c108BFloat16ELb0EEEvPKlPT_S6_PKS5_illliii
	.globl	_ZN4vllm23rotary_embedding_kernelIN3c108BFloat16ELb0EEEvPKlPT_S6_PKS5_illliii
	.p2align	8
	.type	_ZN4vllm23rotary_embedding_kernelIN3c108BFloat16ELb0EEEvPKlPT_S6_PKS5_illliii,@function
_ZN4vllm23rotary_embedding_kernelIN3c108BFloat16ELb0EEEvPKlPT_S6_PKS5_illliii: ; @_ZN4vllm23rotary_embedding_kernelIN3c108BFloat16ELb0EEEvPKlPT_S6_PKS5_illliii
; %bb.0:
	s_load_dword s21, s[4:5], 0x20
	s_load_dwordx2 s[0:1], s[4:5], 0x0
	s_load_dwordx4 s[16:19], s[4:5], 0x10
	s_ashr_i32 s7, s6, 31
	s_lshl_b64 s[2:3], s[6:7], 3
	s_waitcnt lgkmcnt(0)
	s_ashr_i32 s20, s21, 31
	s_add_u32 s0, s0, s2
	s_addc_u32 s1, s1, s3
	s_load_dwordx2 s[2:3], s[0:1], 0x0
	s_load_dwordx8 s[8:15], s[4:5], 0x28
	s_waitcnt lgkmcnt(0)
	s_mul_i32 s0, s2, s20
	s_mul_hi_u32 s1, s2, s21
	s_add_i32 s0, s1, s0
	s_mul_i32 s1, s3, s21
	s_add_i32 s1, s0, s1
	s_mul_i32 s0, s2, s21
	s_lshl_b64 s[0:1], s[0:1], 1
	s_add_u32 s20, s18, s0
	s_addc_u32 s22, s19, s1
	s_lshr_b32 s0, s21, 31
	s_add_i32 s21, s21, s0
	s_ashr_i32 s2, s21, 1
	s_ashr_i32 s3, s2, 31
	s_lshl_b64 s[0:1], s[2:3], 1
	s_add_u32 s21, s20, s0
	s_mul_i32 s14, s2, s14
	s_addc_u32 s23, s22, s1
	v_cmp_gt_i32_e32 vcc, s14, v0
	s_and_saveexec_b64 s[18:19], vcc
	s_cbranch_execz .LBB5_3
; %bb.1:
	s_mul_i32 s0, s6, s9
	s_mul_hi_u32 s1, s6, s8
	s_add_i32 s9, s1, s0
	s_load_dwordx2 s[0:1], s[4:5], 0x8
	s_load_dword s26, s[4:5], 0x5c
	s_mul_i32 s24, s7, s8
	s_add_i32 s9, s9, s24
	s_mul_i32 s8, s6, s8
	s_lshl_b64 s[8:9], s[8:9], 1
	s_waitcnt lgkmcnt(0)
	s_add_u32 s24, s0, s8
	s_addc_u32 s0, s1, s9
	s_abs_i32 s25, s2
	v_cvt_f32_u32_e32 v1, s25
	s_sub_i32 s8, 0, s25
	s_and_b32 s26, s26, 0xffff
	s_lshl_b32 s1, s2, 1
	v_rcp_iflag_f32_e32 v1, v1
	s_sub_i32 s27, 0, s1
	s_lshl_b32 s28, s26, 1
	s_sub_i32 s29, 0, s2
	v_mul_f32_e32 v1, 0x4f7ffffe, v1
	v_cvt_u32_f32_e32 v1, v1
	v_mov_b32_e32 v3, s0
	v_mov_b32_e32 v5, s22
	;; [unrolled: 1-line block ×3, first 2 shown]
	v_mul_lo_u32 v2, s8, v1
	v_mul_hi_u32 v2, v1, v2
	v_add_u32_e32 v1, v1, v2
	v_lshlrev_b32_e32 v2, 1, v0
	s_mov_b64 s[8:9], 0
	s_movk_i32 s30, 0x7fff
	v_mov_b32_e32 v7, 0x7fc00000
	v_mov_b32_e32 v8, 0x7fc0
	s_mov_b32 s31, 0x5040100
	v_mov_b32_e32 v4, v0
.LBB5_2:                                ; =>This Inner Loop Header: Depth=1
	v_sub_u32_e32 v10, 0, v4
	v_max_i32_e32 v10, v4, v10
	v_mul_hi_u32 v11, v10, v1
	v_mul_lo_u32 v12, v11, s25
	v_sub_u32_e32 v10, v10, v12
	v_add_u32_e32 v13, 1, v11
	v_cmp_le_u32_e32 vcc, s25, v10
	v_subrev_u32_e32 v12, s25, v10
	v_cndmask_b32_e32 v11, v11, v13, vcc
	v_cndmask_b32_e32 v10, v10, v12, vcc
	v_ashrrev_i32_e32 v9, 31, v4
	v_add_u32_e32 v12, 1, v11
	v_cmp_le_u32_e32 vcc, s25, v10
	v_xor_b32_e32 v9, s3, v9
	v_cndmask_b32_e32 v10, v11, v12, vcc
	v_xor_b32_e32 v10, v10, v9
	v_sub_u32_e32 v9, v10, v9
	v_mad_u64_u32 v[12:13], s[0:1], s29, v9, v[4:5]
	v_ashrrev_i32_e32 v13, 31, v12
	v_ashrrev_i32_e32 v16, 31, v9
	v_lshlrev_b64 v[12:13], 1, v[12:13]
	v_mul_lo_u32 v17, v9, s13
	v_mad_u64_u32 v[10:11], s[0:1], v9, s12, 0
	v_mad_u64_u32 v[14:15], s[0:1], s27, v9, v[2:3]
	v_mul_lo_u32 v9, v16, s12
	v_add_co_u32_e32 v16, vcc, s20, v12
	v_add3_u32 v11, v11, v17, v9
	v_addc_co_u32_e32 v17, vcc, v5, v13, vcc
	v_add_co_u32_e32 v12, vcc, s21, v12
	v_lshlrev_b64 v[10:11], 1, v[10:11]
	v_addc_co_u32_e32 v13, vcc, v6, v13, vcc
	v_ashrrev_i32_e32 v15, 31, v14
	v_add_co_u32_e32 v9, vcc, s24, v10
	v_lshlrev_b64 v[14:15], 1, v[14:15]
	v_addc_co_u32_e32 v11, vcc, v3, v11, vcc
	v_add_co_u32_e32 v10, vcc, v9, v14
	global_load_ushort v18, v[16:17], off
	global_load_ushort v19, v[12:13], off
	v_addc_co_u32_e32 v11, vcc, v11, v15, vcc
	global_load_dword v9, v[10:11], off
	v_add_u32_e32 v4, s26, v4
	v_cmp_le_i32_e32 vcc, s14, v4
	s_or_b64 s[8:9], vcc, s[8:9]
	v_add_u32_e32 v2, s28, v2
	s_waitcnt vmcnt(2)
	v_lshlrev_b32_e32 v13, 16, v18
	s_waitcnt vmcnt(1)
	v_lshlrev_b32_e32 v15, 16, v19
	v_mov_b32_e32 v12, v15
	v_mov_b32_e32 v16, v13
	s_waitcnt vmcnt(0)
	v_and_b32_e32 v18, 0xffff0000, v9
	v_lshlrev_b32_e32 v14, 16, v9
	v_pk_mul_f32 v[12:13], v[12:13], v[18:19] op_sel_hi:[1,0]
	v_mov_b32_e32 v17, v14
	v_bfe_u32 v9, v12, 16, 1
	v_bfe_u32 v18, v13, 16, 1
	v_pk_mul_f32 v[14:15], v[16:17], v[14:15]
	v_add3_u32 v16, v13, v18, s30
	v_add3_u32 v9, v12, v9, s30
	v_bfe_u32 v17, v14, 16, 1
	v_bfe_u32 v18, v15, 16, 1
	v_and_b32_e32 v9, 0xffff0000, v9
	v_and_b32_e32 v16, 0xffff0000, v16
	v_add3_u32 v18, v15, v18, s30
	v_add3_u32 v17, v14, v17, s30
	v_cmp_o_f32_e32 vcc, v12, v12
	v_cmp_o_f32_e64 s[0:1], v13, v13
	v_and_b32_e32 v17, 0xffff0000, v17
	v_and_b32_e32 v18, 0xffff0000, v18
	v_cndmask_b32_e64 v13, v7, v16, s[0:1]
	v_cndmask_b32_e32 v12, v7, v9, vcc
	v_cmp_o_f32_e32 vcc, v14, v14
	v_cmp_o_f32_e64 s[0:1], v15, v15
	v_cndmask_b32_e64 v15, v7, v18, s[0:1]
	v_cndmask_b32_e32 v14, v7, v17, vcc
	v_pk_add_f32 v[16:17], v[14:15], v[12:13] neg_lo:[0,1] neg_hi:[0,1]
	v_pk_add_f32 v[12:13], v[14:15], v[12:13]
	v_bfe_u32 v9, v16, 16, 1
	v_bfe_u32 v12, v13, 16, 1
	v_add3_u32 v12, v13, v12, s30
	v_add3_u32 v9, v16, v9, s30
	v_lshrrev_b32_e32 v9, 16, v9
	v_lshrrev_b32_e32 v12, 16, v12
	v_cmp_o_f32_e32 vcc, v13, v13
	v_cmp_o_f32_e64 s[0:1], v16, v16
	v_cndmask_b32_e64 v9, v8, v9, s[0:1]
	v_cndmask_b32_e32 v12, v8, v12, vcc
	v_perm_b32 v9, v12, v9, s31
	global_store_dword v[10:11], v9, off
	s_andn2_b64 exec, exec, s[8:9]
	s_cbranch_execnz .LBB5_2
.LBB5_3:
	s_or_b64 exec, exec, s[18:19]
	s_cmp_lg_u64 s[16:17], 0
	s_cbranch_scc0 .LBB5_7
; %bb.4:
	s_mul_i32 s8, s2, s15
	v_cmp_gt_i32_e32 vcc, s8, v0
	s_and_saveexec_b64 s[0:1], vcc
	s_cbranch_execz .LBB5_7
; %bb.5:
	s_mul_i32 s0, s6, s11
	s_mul_hi_u32 s1, s6, s10
	s_add_i32 s0, s1, s0
	s_mul_i32 s1, s7, s10
	s_add_i32 s1, s0, s1
	s_mul_i32 s0, s6, s10
	s_lshl_b64 s[0:1], s[0:1], 1
	s_add_u32 s6, s16, s0
	s_addc_u32 s0, s17, s1
	s_abs_i32 s7, s2
	v_cvt_f32_u32_e32 v1, s7
	s_load_dword s1, s[4:5], 0x5c
	s_sub_i32 s4, 0, s7
	v_mov_b32_e32 v3, s0
	v_rcp_iflag_f32_e32 v1, v1
	v_mov_b32_e32 v4, s22
	s_waitcnt lgkmcnt(0)
	s_and_b32 s9, s1, 0xffff
	s_lshl_b32 s1, s2, 1
	v_mul_f32_e32 v1, 0x4f7ffffe, v1
	v_cvt_u32_f32_e32 v1, v1
	s_sub_i32 s10, 0, s1
	s_lshl_b32 s11, s9, 1
	s_sub_i32 s2, 0, s2
	v_mul_lo_u32 v2, s4, v1
	v_mul_hi_u32 v2, v1, v2
	v_add_u32_e32 v1, v1, v2
	v_lshlrev_b32_e32 v2, 1, v0
	s_mov_b64 s[4:5], 0
	v_mov_b32_e32 v5, s23
	s_movk_i32 s14, 0x7fff
	v_mov_b32_e32 v6, 0x7fc00000
	v_mov_b32_e32 v7, 0x7fc0
	s_mov_b32 s15, 0x5040100
.LBB5_6:                                ; =>This Inner Loop Header: Depth=1
	v_sub_u32_e32 v9, 0, v0
	v_max_i32_e32 v9, v0, v9
	v_mul_hi_u32 v10, v9, v1
	v_mul_lo_u32 v11, v10, s7
	v_sub_u32_e32 v9, v9, v11
	v_add_u32_e32 v12, 1, v10
	v_cmp_le_u32_e32 vcc, s7, v9
	v_subrev_u32_e32 v11, s7, v9
	v_cndmask_b32_e32 v10, v10, v12, vcc
	v_cndmask_b32_e32 v9, v9, v11, vcc
	v_ashrrev_i32_e32 v8, 31, v0
	v_add_u32_e32 v11, 1, v10
	v_cmp_le_u32_e32 vcc, s7, v9
	v_xor_b32_e32 v8, s3, v8
	v_cndmask_b32_e32 v9, v10, v11, vcc
	v_xor_b32_e32 v9, v9, v8
	v_sub_u32_e32 v12, v9, v8
	v_mad_u64_u32 v[10:11], s[0:1], s2, v12, v[0:1]
	v_ashrrev_i32_e32 v14, 31, v12
	v_ashrrev_i32_e32 v11, 31, v10
	v_mul_lo_u32 v15, v12, s13
	v_mad_u64_u32 v[8:9], s[0:1], v12, s12, 0
	v_mul_lo_u32 v14, v14, s12
	v_lshlrev_b64 v[10:11], 1, v[10:11]
	v_add3_u32 v9, v9, v15, v14
	v_add_co_u32_e32 v14, vcc, s20, v10
	v_addc_co_u32_e32 v15, vcc, v4, v11, vcc
	v_add_co_u32_e32 v10, vcc, s21, v10
	v_mad_u64_u32 v[12:13], s[0:1], s10, v12, v[2:3]
	v_lshlrev_b64 v[8:9], 1, v[8:9]
	v_addc_co_u32_e32 v11, vcc, v5, v11, vcc
	v_ashrrev_i32_e32 v13, 31, v12
	v_add_co_u32_e32 v8, vcc, s6, v8
	v_lshlrev_b64 v[12:13], 1, v[12:13]
	v_addc_co_u32_e32 v9, vcc, v3, v9, vcc
	v_add_co_u32_e32 v8, vcc, v8, v12
	global_load_ushort v16, v[14:15], off
	global_load_ushort v17, v[10:11], off
	v_addc_co_u32_e32 v9, vcc, v9, v13, vcc
	global_load_dword v12, v[8:9], off
	v_add_u32_e32 v0, s9, v0
	v_cmp_le_i32_e32 vcc, s8, v0
	s_or_b64 s[4:5], vcc, s[4:5]
	v_add_u32_e32 v2, s11, v2
	s_waitcnt vmcnt(2)
	v_lshlrev_b32_e32 v11, 16, v16
	s_waitcnt vmcnt(1)
	v_lshlrev_b32_e32 v13, 16, v17
	v_mov_b32_e32 v10, v13
	v_mov_b32_e32 v14, v11
	s_waitcnt vmcnt(0)
	v_and_b32_e32 v16, 0xffff0000, v12
	v_lshlrev_b32_e32 v12, 16, v12
	v_pk_mul_f32 v[10:11], v[10:11], v[16:17] op_sel_hi:[1,0]
	v_mov_b32_e32 v15, v12
	v_bfe_u32 v16, v10, 16, 1
	v_bfe_u32 v17, v11, 16, 1
	v_pk_mul_f32 v[12:13], v[14:15], v[12:13]
	v_add3_u32 v14, v11, v17, s14
	v_add3_u32 v15, v10, v16, s14
	v_bfe_u32 v16, v12, 16, 1
	v_bfe_u32 v17, v13, 16, 1
	v_and_b32_e32 v15, 0xffff0000, v15
	v_and_b32_e32 v14, 0xffff0000, v14
	v_add3_u32 v17, v13, v17, s14
	v_add3_u32 v16, v12, v16, s14
	v_cmp_o_f32_e32 vcc, v10, v10
	v_cmp_o_f32_e64 s[0:1], v11, v11
	v_and_b32_e32 v16, 0xffff0000, v16
	v_and_b32_e32 v17, 0xffff0000, v17
	v_cndmask_b32_e64 v11, v6, v14, s[0:1]
	v_cndmask_b32_e32 v10, v6, v15, vcc
	v_cmp_o_f32_e32 vcc, v12, v12
	v_cmp_o_f32_e64 s[0:1], v13, v13
	v_cndmask_b32_e64 v13, v6, v17, s[0:1]
	v_cndmask_b32_e32 v12, v6, v16, vcc
	v_pk_add_f32 v[14:15], v[12:13], v[10:11] neg_lo:[0,1] neg_hi:[0,1]
	v_pk_add_f32 v[10:11], v[12:13], v[10:11]
	v_bfe_u32 v10, v14, 16, 1
	v_bfe_u32 v12, v11, 16, 1
	v_add3_u32 v12, v11, v12, s14
	v_add3_u32 v10, v14, v10, s14
	v_lshrrev_b32_e32 v10, 16, v10
	v_lshrrev_b32_e32 v12, 16, v12
	v_cmp_o_f32_e32 vcc, v11, v11
	v_cmp_o_f32_e64 s[0:1], v14, v14
	v_cndmask_b32_e64 v10, v7, v10, s[0:1]
	v_cndmask_b32_e32 v11, v7, v12, vcc
	v_perm_b32 v10, v11, v10, s15
	global_store_dword v[8:9], v10, off
	s_andn2_b64 exec, exec, s[4:5]
	s_cbranch_execnz .LBB5_6
.LBB5_7:
	s_endpgm
	.section	.rodata,"a",@progbits
	.p2align	6, 0x0
	.amdhsa_kernel _ZN4vllm23rotary_embedding_kernelIN3c108BFloat16ELb0EEEvPKlPT_S6_PKS5_illliii
		.amdhsa_group_segment_fixed_size 0
		.amdhsa_private_segment_fixed_size 0
		.amdhsa_kernarg_size 336
		.amdhsa_user_sgpr_count 6
		.amdhsa_user_sgpr_private_segment_buffer 1
		.amdhsa_user_sgpr_dispatch_ptr 0
		.amdhsa_user_sgpr_queue_ptr 0
		.amdhsa_user_sgpr_kernarg_segment_ptr 1
		.amdhsa_user_sgpr_dispatch_id 0
		.amdhsa_user_sgpr_flat_scratch_init 0
		.amdhsa_user_sgpr_kernarg_preload_length 0
		.amdhsa_user_sgpr_kernarg_preload_offset 0
		.amdhsa_user_sgpr_private_segment_size 0
		.amdhsa_uses_dynamic_stack 0
		.amdhsa_system_sgpr_private_segment_wavefront_offset 0
		.amdhsa_system_sgpr_workgroup_id_x 1
		.amdhsa_system_sgpr_workgroup_id_y 0
		.amdhsa_system_sgpr_workgroup_id_z 0
		.amdhsa_system_sgpr_workgroup_info 0
		.amdhsa_system_vgpr_workitem_id 0
		.amdhsa_next_free_vgpr 20
		.amdhsa_next_free_sgpr 32
		.amdhsa_accum_offset 20
		.amdhsa_reserve_vcc 1
		.amdhsa_reserve_flat_scratch 0
		.amdhsa_float_round_mode_32 0
		.amdhsa_float_round_mode_16_64 0
		.amdhsa_float_denorm_mode_32 3
		.amdhsa_float_denorm_mode_16_64 3
		.amdhsa_dx10_clamp 1
		.amdhsa_ieee_mode 1
		.amdhsa_fp16_overflow 0
		.amdhsa_tg_split 0
		.amdhsa_exception_fp_ieee_invalid_op 0
		.amdhsa_exception_fp_denorm_src 0
		.amdhsa_exception_fp_ieee_div_zero 0
		.amdhsa_exception_fp_ieee_overflow 0
		.amdhsa_exception_fp_ieee_underflow 0
		.amdhsa_exception_fp_ieee_inexact 0
		.amdhsa_exception_int_div_zero 0
	.end_amdhsa_kernel
	.section	.text._ZN4vllm23rotary_embedding_kernelIN3c108BFloat16ELb0EEEvPKlPT_S6_PKS5_illliii,"axG",@progbits,_ZN4vllm23rotary_embedding_kernelIN3c108BFloat16ELb0EEEvPKlPT_S6_PKS5_illliii,comdat
.Lfunc_end5:
	.size	_ZN4vllm23rotary_embedding_kernelIN3c108BFloat16ELb0EEEvPKlPT_S6_PKS5_illliii, .Lfunc_end5-_ZN4vllm23rotary_embedding_kernelIN3c108BFloat16ELb0EEEvPKlPT_S6_PKS5_illliii
                                        ; -- End function
	.section	.AMDGPU.csdata,"",@progbits
; Kernel info:
; codeLenInByte = 1608
; NumSgprs: 36
; NumVgprs: 20
; NumAgprs: 0
; TotalNumVgprs: 20
; ScratchSize: 0
; MemoryBound: 0
; FloatMode: 240
; IeeeMode: 1
; LDSByteSize: 0 bytes/workgroup (compile time only)
; SGPRBlocks: 4
; VGPRBlocks: 2
; NumSGPRsForWavesPerEU: 36
; NumVGPRsForWavesPerEU: 20
; AccumOffset: 20
; Occupancy: 8
; WaveLimiterHint : 1
; COMPUTE_PGM_RSRC2:SCRATCH_EN: 0
; COMPUTE_PGM_RSRC2:USER_SGPR: 6
; COMPUTE_PGM_RSRC2:TRAP_HANDLER: 0
; COMPUTE_PGM_RSRC2:TGID_X_EN: 1
; COMPUTE_PGM_RSRC2:TGID_Y_EN: 0
; COMPUTE_PGM_RSRC2:TGID_Z_EN: 0
; COMPUTE_PGM_RSRC2:TIDIG_COMP_CNT: 0
; COMPUTE_PGM_RSRC3_GFX90A:ACCUM_OFFSET: 4
; COMPUTE_PGM_RSRC3_GFX90A:TG_SPLIT: 0
	.section	.text._ZN4vllm31batched_rotary_embedding_kernelIfLb1EEEvPKlPT_S4_PKS3_S2_illliii,"axG",@progbits,_ZN4vllm31batched_rotary_embedding_kernelIfLb1EEEvPKlPT_S4_PKS3_S2_illliii,comdat
	.protected	_ZN4vllm31batched_rotary_embedding_kernelIfLb1EEEvPKlPT_S4_PKS3_S2_illliii ; -- Begin function _ZN4vllm31batched_rotary_embedding_kernelIfLb1EEEvPKlPT_S4_PKS3_S2_illliii
	.globl	_ZN4vllm31batched_rotary_embedding_kernelIfLb1EEEvPKlPT_S4_PKS3_S2_illliii
	.p2align	8
	.type	_ZN4vllm31batched_rotary_embedding_kernelIfLb1EEEvPKlPT_S4_PKS3_S2_illliii,@function
_ZN4vllm31batched_rotary_embedding_kernelIfLb1EEEvPKlPT_S4_PKS3_S2_illliii: ; @_ZN4vllm31batched_rotary_embedding_kernelIfLb1EEEvPKlPT_S4_PKS3_S2_illliii
; %bb.0:
	s_load_dword s22, s[4:5], 0x28
	s_load_dwordx2 s[8:9], s[4:5], 0x20
	s_load_dwordx2 s[10:11], s[4:5], 0x0
	s_load_dwordx4 s[0:3], s[4:5], 0x10
	s_ashr_i32 s7, s6, 31
	s_waitcnt lgkmcnt(0)
	s_ashr_i32 s23, s22, 31
	s_lshl_b64 s[12:13], s[6:7], 3
	s_add_u32 s10, s10, s12
	s_addc_u32 s11, s11, s13
	s_add_u32 s18, s8, s12
	s_load_dwordx2 s[16:17], s[10:11], 0x0
	s_addc_u32 s19, s9, s13
	s_load_dwordx2 s[20:21], s[18:19], 0x0
	s_load_dwordx8 s[8:15], s[4:5], 0x30
	s_waitcnt lgkmcnt(0)
	s_add_u32 s16, s20, s16
	s_addc_u32 s17, s21, s17
	s_mul_i32 s18, s16, s23
	s_mul_hi_u32 s19, s16, s22
	s_add_i32 s18, s19, s18
	s_mul_i32 s17, s17, s22
	s_add_i32 s17, s18, s17
	s_mul_i32 s16, s16, s22
	s_lshl_b64 s[16:17], s[16:17], 2
	s_add_u32 s20, s2, s16
	s_addc_u32 s21, s3, s17
	s_lshr_b32 s2, s22, 31
	s_add_i32 s22, s22, s2
	s_ashr_i32 s16, s22, 1
	s_ashr_i32 s17, s16, 31
	s_lshl_b64 s[2:3], s[16:17], 2
	s_add_u32 s17, s20, s2
	s_mul_i32 s14, s16, s14
	s_addc_u32 s22, s21, s3
	v_cmp_gt_i32_e32 vcc, s14, v0
	s_and_saveexec_b64 s[18:19], vcc
	s_cbranch_execz .LBB6_3
; %bb.1:
	s_load_dwordx2 s[24:25], s[4:5], 0x8
	s_load_dword s26, s[4:5], 0x64
	s_mul_i32 s9, s6, s9
	s_mul_hi_u32 s23, s6, s8
	s_add_i32 s9, s23, s9
	s_mul_i32 s23, s7, s8
	s_add_i32 s9, s9, s23
	s_mul_i32 s8, s6, s8
	s_lshl_b64 s[8:9], s[8:9], 2
	s_waitcnt lgkmcnt(0)
	s_add_u32 s23, s24, s8
	s_addc_u32 s28, s25, s9
	s_abs_i32 s24, s16
	v_cvt_f32_u32_e32 v1, s24
	s_sub_i32 s8, 0, s24
	s_and_b32 s25, s26, 0xffff
	s_ashr_i32 s26, s16, 31
	v_rcp_iflag_f32_e32 v1, v1
	s_sub_i32 s27, 0, s16
	v_mov_b32_e32 v3, s28
	v_mov_b32_e32 v4, s21
	v_mul_f32_e32 v1, 0x4f7ffffe, v1
	v_cvt_u32_f32_e32 v1, v1
	v_mov_b32_e32 v5, s22
	v_mov_b32_e32 v6, s3
	v_mul_lo_u32 v2, s8, v1
	v_mul_hi_u32 v2, v1, v2
	v_add_u32_e32 v1, v1, v2
	s_mov_b64 s[8:9], 0
	v_mov_b32_e32 v2, v0
.LBB6_2:                                ; =>This Inner Loop Header: Depth=1
	v_sub_u32_e32 v8, 0, v2
	v_max_i32_e32 v8, v2, v8
	v_mul_hi_u32 v9, v8, v1
	v_mul_lo_u32 v10, v9, s24
	v_sub_u32_e32 v8, v8, v10
	v_add_u32_e32 v11, 1, v9
	v_cmp_le_u32_e32 vcc, s24, v8
	v_subrev_u32_e32 v10, s24, v8
	v_cndmask_b32_e32 v9, v9, v11, vcc
	v_cndmask_b32_e32 v8, v8, v10, vcc
	v_ashrrev_i32_e32 v7, 31, v2
	v_add_u32_e32 v10, 1, v9
	v_cmp_le_u32_e32 vcc, s24, v8
	v_xor_b32_e32 v7, s26, v7
	v_cndmask_b32_e32 v8, v9, v10, vcc
	v_xor_b32_e32 v8, v8, v7
	v_sub_u32_e32 v7, v8, v7
	v_mad_u64_u32 v[10:11], s[28:29], s27, v7, v[2:3]
	v_ashrrev_i32_e32 v11, 31, v10
	v_ashrrev_i32_e32 v12, 31, v7
	v_lshlrev_b64 v[10:11], 2, v[10:11]
	v_mul_lo_u32 v13, v7, s13
	v_mad_u64_u32 v[8:9], s[28:29], v7, s12, 0
	v_mul_lo_u32 v7, v12, s12
	v_add_co_u32_e32 v12, vcc, s20, v10
	v_add3_u32 v9, v9, v13, v7
	v_addc_co_u32_e32 v13, vcc, v4, v11, vcc
	v_add_co_u32_e32 v14, vcc, s17, v10
	v_lshlrev_b64 v[8:9], 2, v[8:9]
	v_addc_co_u32_e32 v15, vcc, v5, v11, vcc
	v_add_co_u32_e32 v7, vcc, s23, v8
	v_addc_co_u32_e32 v9, vcc, v3, v9, vcc
	v_add_co_u32_e32 v8, vcc, v7, v10
	;; [unrolled: 2-line block ×3, first 2 shown]
	global_load_dword v16, v[12:13], off
	global_load_dword v17, v[14:15], off
	v_addc_co_u32_e32 v11, vcc, v9, v6, vcc
	global_load_dword v7, v[8:9], off
	global_load_dword v12, v[10:11], off
	v_add_u32_e32 v2, s25, v2
	v_cmp_le_i32_e32 vcc, s14, v2
	s_or_b64 s[8:9], vcc, s[8:9]
	s_waitcnt vmcnt(0)
	v_mul_f32_e32 v13, v17, v12
	v_mul_f32_e32 v12, v16, v12
	v_fma_f32 v13, v16, v7, -v13
	v_fmac_f32_e32 v12, v17, v7
	global_store_dword v[8:9], v13, off
	global_store_dword v[10:11], v12, off
	s_andn2_b64 exec, exec, s[8:9]
	s_cbranch_execnz .LBB6_2
.LBB6_3:
	s_or_b64 exec, exec, s[18:19]
	s_cmp_lg_u64 s[0:1], 0
	s_cbranch_scc0 .LBB6_7
; %bb.4:
	s_mul_i32 s8, s16, s15
	v_cmp_gt_i32_e32 vcc, s8, v0
	s_and_saveexec_b64 s[14:15], vcc
	s_cbranch_execz .LBB6_7
; %bb.5:
	s_mul_i32 s9, s6, s11
	s_mul_hi_u32 s11, s6, s10
	s_add_i32 s9, s11, s9
	s_mul_i32 s7, s7, s10
	s_add_i32 s7, s9, s7
	s_mul_i32 s6, s6, s10
	s_lshl_b64 s[6:7], s[6:7], 2
	s_add_u32 s6, s0, s6
	s_addc_u32 s10, s1, s7
	s_abs_i32 s7, s16
	v_cvt_f32_u32_e32 v1, s7
	s_load_dword s0, s[4:5], 0x64
	s_ashr_i32 s5, s16, 31
	s_sub_i32 s9, 0, s16
	v_rcp_iflag_f32_e32 v1, v1
	v_mov_b32_e32 v3, s21
	s_waitcnt lgkmcnt(0)
	s_and_b32 s4, s0, 0xffff
	s_sub_i32 s0, 0, s7
	v_mul_f32_e32 v1, 0x4f7ffffe, v1
	v_cvt_u32_f32_e32 v1, v1
	v_mov_b32_e32 v4, s22
	v_mov_b32_e32 v5, s3
	v_mul_lo_u32 v2, s0, v1
	v_mul_hi_u32 v2, v1, v2
	v_add_u32_e32 v1, v1, v2
	s_mov_b64 s[0:1], 0
	v_mov_b32_e32 v2, s10
.LBB6_6:                                ; =>This Inner Loop Header: Depth=1
	v_sub_u32_e32 v7, 0, v0
	v_max_i32_e32 v7, v0, v7
	v_mul_hi_u32 v8, v7, v1
	v_mul_lo_u32 v9, v8, s7
	v_sub_u32_e32 v7, v7, v9
	v_add_u32_e32 v10, 1, v8
	v_cmp_le_u32_e32 vcc, s7, v7
	v_subrev_u32_e32 v9, s7, v7
	v_cndmask_b32_e32 v8, v8, v10, vcc
	v_cndmask_b32_e32 v7, v7, v9, vcc
	v_ashrrev_i32_e32 v6, 31, v0
	v_add_u32_e32 v9, 1, v8
	v_cmp_le_u32_e32 vcc, s7, v7
	v_xor_b32_e32 v6, s5, v6
	v_cndmask_b32_e32 v7, v8, v9, vcc
	v_xor_b32_e32 v7, v7, v6
	v_sub_u32_e32 v8, v7, v6
	v_ashrrev_i32_e32 v10, 31, v8
	v_mul_lo_u32 v11, v8, s13
	v_mad_u64_u32 v[6:7], s[10:11], v8, s12, 0
	v_mad_u64_u32 v[8:9], s[10:11], s9, v8, v[0:1]
	v_ashrrev_i32_e32 v9, 31, v8
	v_mul_lo_u32 v10, v10, s12
	v_lshlrev_b64 v[8:9], 2, v[8:9]
	v_add3_u32 v7, v7, v11, v10
	v_add_co_u32_e32 v10, vcc, s20, v8
	v_addc_co_u32_e32 v11, vcc, v3, v9, vcc
	v_add_co_u32_e32 v12, vcc, s17, v8
	v_lshlrev_b64 v[6:7], 2, v[6:7]
	v_addc_co_u32_e32 v13, vcc, v4, v9, vcc
	v_add_co_u32_e32 v6, vcc, s6, v6
	v_addc_co_u32_e32 v7, vcc, v2, v7, vcc
	v_add_co_u32_e32 v6, vcc, v6, v8
	;; [unrolled: 2-line block ×3, first 2 shown]
	global_load_dword v14, v[10:11], off
	global_load_dword v15, v[12:13], off
	v_addc_co_u32_e32 v9, vcc, v7, v5, vcc
	global_load_dword v10, v[6:7], off
	global_load_dword v11, v[8:9], off
	v_add_u32_e32 v0, s4, v0
	v_cmp_le_i32_e32 vcc, s8, v0
	s_or_b64 s[0:1], vcc, s[0:1]
	s_waitcnt vmcnt(0)
	v_mul_f32_e32 v12, v15, v11
	v_mul_f32_e32 v11, v14, v11
	v_fma_f32 v12, v14, v10, -v12
	v_fmac_f32_e32 v11, v15, v10
	global_store_dword v[6:7], v12, off
	global_store_dword v[8:9], v11, off
	s_andn2_b64 exec, exec, s[0:1]
	s_cbranch_execnz .LBB6_6
.LBB6_7:
	s_endpgm
	.section	.rodata,"a",@progbits
	.p2align	6, 0x0
	.amdhsa_kernel _ZN4vllm31batched_rotary_embedding_kernelIfLb1EEEvPKlPT_S4_PKS3_S2_illliii
		.amdhsa_group_segment_fixed_size 0
		.amdhsa_private_segment_fixed_size 0
		.amdhsa_kernarg_size 344
		.amdhsa_user_sgpr_count 6
		.amdhsa_user_sgpr_private_segment_buffer 1
		.amdhsa_user_sgpr_dispatch_ptr 0
		.amdhsa_user_sgpr_queue_ptr 0
		.amdhsa_user_sgpr_kernarg_segment_ptr 1
		.amdhsa_user_sgpr_dispatch_id 0
		.amdhsa_user_sgpr_flat_scratch_init 0
		.amdhsa_user_sgpr_kernarg_preload_length 0
		.amdhsa_user_sgpr_kernarg_preload_offset 0
		.amdhsa_user_sgpr_private_segment_size 0
		.amdhsa_uses_dynamic_stack 0
		.amdhsa_system_sgpr_private_segment_wavefront_offset 0
		.amdhsa_system_sgpr_workgroup_id_x 1
		.amdhsa_system_sgpr_workgroup_id_y 0
		.amdhsa_system_sgpr_workgroup_id_z 0
		.amdhsa_system_sgpr_workgroup_info 0
		.amdhsa_system_vgpr_workitem_id 0
		.amdhsa_next_free_vgpr 18
		.amdhsa_next_free_sgpr 30
		.amdhsa_accum_offset 20
		.amdhsa_reserve_vcc 1
		.amdhsa_reserve_flat_scratch 0
		.amdhsa_float_round_mode_32 0
		.amdhsa_float_round_mode_16_64 0
		.amdhsa_float_denorm_mode_32 3
		.amdhsa_float_denorm_mode_16_64 3
		.amdhsa_dx10_clamp 1
		.amdhsa_ieee_mode 1
		.amdhsa_fp16_overflow 0
		.amdhsa_tg_split 0
		.amdhsa_exception_fp_ieee_invalid_op 0
		.amdhsa_exception_fp_denorm_src 0
		.amdhsa_exception_fp_ieee_div_zero 0
		.amdhsa_exception_fp_ieee_overflow 0
		.amdhsa_exception_fp_ieee_underflow 0
		.amdhsa_exception_fp_ieee_inexact 0
		.amdhsa_exception_int_div_zero 0
	.end_amdhsa_kernel
	.section	.text._ZN4vllm31batched_rotary_embedding_kernelIfLb1EEEvPKlPT_S4_PKS3_S2_illliii,"axG",@progbits,_ZN4vllm31batched_rotary_embedding_kernelIfLb1EEEvPKlPT_S4_PKS3_S2_illliii,comdat
.Lfunc_end6:
	.size	_ZN4vllm31batched_rotary_embedding_kernelIfLb1EEEvPKlPT_S4_PKS3_S2_illliii, .Lfunc_end6-_ZN4vllm31batched_rotary_embedding_kernelIfLb1EEEvPKlPT_S4_PKS3_S2_illliii
                                        ; -- End function
	.section	.AMDGPU.csdata,"",@progbits
; Kernel info:
; codeLenInByte = 1032
; NumSgprs: 34
; NumVgprs: 18
; NumAgprs: 0
; TotalNumVgprs: 18
; ScratchSize: 0
; MemoryBound: 0
; FloatMode: 240
; IeeeMode: 1
; LDSByteSize: 0 bytes/workgroup (compile time only)
; SGPRBlocks: 4
; VGPRBlocks: 2
; NumSGPRsForWavesPerEU: 34
; NumVGPRsForWavesPerEU: 18
; AccumOffset: 20
; Occupancy: 8
; WaveLimiterHint : 1
; COMPUTE_PGM_RSRC2:SCRATCH_EN: 0
; COMPUTE_PGM_RSRC2:USER_SGPR: 6
; COMPUTE_PGM_RSRC2:TRAP_HANDLER: 0
; COMPUTE_PGM_RSRC2:TGID_X_EN: 1
; COMPUTE_PGM_RSRC2:TGID_Y_EN: 0
; COMPUTE_PGM_RSRC2:TGID_Z_EN: 0
; COMPUTE_PGM_RSRC2:TIDIG_COMP_CNT: 0
; COMPUTE_PGM_RSRC3_GFX90A:ACCUM_OFFSET: 4
; COMPUTE_PGM_RSRC3_GFX90A:TG_SPLIT: 0
	.section	.text._ZN4vllm31batched_rotary_embedding_kernelIfLb0EEEvPKlPT_S4_PKS3_S2_illliii,"axG",@progbits,_ZN4vllm31batched_rotary_embedding_kernelIfLb0EEEvPKlPT_S4_PKS3_S2_illliii,comdat
	.protected	_ZN4vllm31batched_rotary_embedding_kernelIfLb0EEEvPKlPT_S4_PKS3_S2_illliii ; -- Begin function _ZN4vllm31batched_rotary_embedding_kernelIfLb0EEEvPKlPT_S4_PKS3_S2_illliii
	.globl	_ZN4vllm31batched_rotary_embedding_kernelIfLb0EEEvPKlPT_S4_PKS3_S2_illliii
	.p2align	8
	.type	_ZN4vllm31batched_rotary_embedding_kernelIfLb0EEEvPKlPT_S4_PKS3_S2_illliii,@function
_ZN4vllm31batched_rotary_embedding_kernelIfLb0EEEvPKlPT_S4_PKS3_S2_illliii: ; @_ZN4vllm31batched_rotary_embedding_kernelIfLb0EEEvPKlPT_S4_PKS3_S2_illliii
; %bb.0:
	s_load_dword s22, s[4:5], 0x28
	s_load_dwordx2 s[8:9], s[4:5], 0x20
	s_load_dwordx2 s[10:11], s[4:5], 0x0
	s_load_dwordx4 s[0:3], s[4:5], 0x10
	s_ashr_i32 s7, s6, 31
	s_waitcnt lgkmcnt(0)
	s_ashr_i32 s23, s22, 31
	s_lshl_b64 s[12:13], s[6:7], 3
	s_add_u32 s10, s10, s12
	s_addc_u32 s11, s11, s13
	s_add_u32 s18, s8, s12
	s_load_dwordx2 s[16:17], s[10:11], 0x0
	s_addc_u32 s19, s9, s13
	s_load_dwordx2 s[20:21], s[18:19], 0x0
	s_load_dwordx8 s[8:15], s[4:5], 0x30
	s_waitcnt lgkmcnt(0)
	s_add_u32 s16, s20, s16
	s_addc_u32 s17, s21, s17
	s_mul_i32 s18, s16, s23
	s_mul_hi_u32 s19, s16, s22
	s_add_i32 s18, s19, s18
	s_mul_i32 s17, s17, s22
	s_add_i32 s17, s18, s17
	s_mul_i32 s16, s16, s22
	s_lshl_b64 s[16:17], s[16:17], 2
	s_add_u32 s18, s2, s16
	s_addc_u32 s20, s3, s17
	s_lshr_b32 s2, s22, 31
	s_add_i32 s22, s22, s2
	s_ashr_i32 s2, s22, 1
	s_ashr_i32 s3, s2, 31
	s_lshl_b64 s[16:17], s[2:3], 2
	s_add_u32 s19, s18, s16
	s_mul_i32 s14, s2, s14
	s_addc_u32 s21, s20, s17
	v_cmp_gt_i32_e32 vcc, s14, v0
	s_and_saveexec_b64 s[16:17], vcc
	s_cbranch_execz .LBB7_3
; %bb.1:
	s_mul_i32 s9, s6, s9
	s_mul_hi_u32 s22, s6, s8
	s_add_i32 s9, s22, s9
	s_load_dwordx2 s[22:23], s[4:5], 0x8
	s_mul_i32 s24, s7, s8
	s_add_i32 s9, s9, s24
	s_load_dword s24, s[4:5], 0x64
	s_mul_i32 s8, s6, s8
	s_lshl_b64 s[8:9], s[8:9], 2
	s_waitcnt lgkmcnt(0)
	s_add_u32 s22, s22, s8
	s_addc_u32 s28, s23, s9
	s_abs_i32 s23, s2
	v_cvt_f32_u32_e32 v1, s23
	s_sub_i32 s9, 0, s23
	s_and_b32 s24, s24, 0xffff
	s_lshl_b32 s8, s2, 1
	v_rcp_iflag_f32_e32 v1, v1
	s_sub_i32 s25, 0, s8
	s_lshl_b32 s26, s24, 1
	s_sub_i32 s27, 0, s2
	v_mul_f32_e32 v1, 0x4f7ffffe, v1
	v_cvt_u32_f32_e32 v1, v1
	v_mov_b32_e32 v3, s28
	v_mov_b32_e32 v5, s20
	;; [unrolled: 1-line block ×3, first 2 shown]
	v_mul_lo_u32 v2, s9, v1
	v_mul_hi_u32 v2, v1, v2
	v_add_u32_e32 v1, v1, v2
	v_lshlrev_b32_e32 v2, 1, v0
	s_mov_b64 s[8:9], 0
	v_mov_b32_e32 v4, v0
.LBB7_2:                                ; =>This Inner Loop Header: Depth=1
	v_sub_u32_e32 v8, 0, v4
	v_max_i32_e32 v8, v4, v8
	v_mul_hi_u32 v9, v8, v1
	v_mul_lo_u32 v10, v9, s23
	v_sub_u32_e32 v8, v8, v10
	v_add_u32_e32 v11, 1, v9
	v_cmp_le_u32_e32 vcc, s23, v8
	v_subrev_u32_e32 v10, s23, v8
	v_cndmask_b32_e32 v9, v9, v11, vcc
	v_cndmask_b32_e32 v8, v8, v10, vcc
	v_ashrrev_i32_e32 v7, 31, v4
	v_add_u32_e32 v10, 1, v9
	v_cmp_le_u32_e32 vcc, s23, v8
	v_xor_b32_e32 v7, s3, v7
	v_cndmask_b32_e32 v8, v9, v10, vcc
	v_xor_b32_e32 v8, v8, v7
	v_sub_u32_e32 v7, v8, v7
	v_mad_u64_u32 v[10:11], s[28:29], s27, v7, v[4:5]
	v_ashrrev_i32_e32 v11, 31, v10
	v_ashrrev_i32_e32 v14, 31, v7
	v_lshlrev_b64 v[10:11], 2, v[10:11]
	v_mul_lo_u32 v15, v7, s13
	v_mad_u64_u32 v[8:9], s[28:29], v7, s12, 0
	v_mad_u64_u32 v[12:13], s[28:29], s25, v7, v[2:3]
	v_mul_lo_u32 v7, v14, s12
	v_add_co_u32_e32 v14, vcc, s18, v10
	v_add3_u32 v9, v9, v15, v7
	v_addc_co_u32_e32 v15, vcc, v5, v11, vcc
	v_add_co_u32_e32 v10, vcc, s19, v10
	v_lshlrev_b64 v[8:9], 2, v[8:9]
	v_addc_co_u32_e32 v11, vcc, v6, v11, vcc
	v_ashrrev_i32_e32 v13, 31, v12
	v_add_co_u32_e32 v7, vcc, s22, v8
	v_lshlrev_b64 v[12:13], 2, v[12:13]
	v_addc_co_u32_e32 v9, vcc, v3, v9, vcc
	v_add_co_u32_e32 v8, vcc, v7, v12
	v_addc_co_u32_e32 v9, vcc, v9, v13, vcc
	global_load_dword v16, v[14:15], off
	global_load_dword v17, v[10:11], off
	v_add_u32_e32 v4, s24, v4
	global_load_dwordx2 v[10:11], v[8:9], off
	v_cmp_le_i32_e32 vcc, s14, v4
	v_add_u32_e32 v2, s26, v2
	s_or_b64 s[8:9], vcc, s[8:9]
	s_waitcnt vmcnt(0)
	v_mul_f32_e32 v7, v17, v11
	v_mul_f32_e32 v13, v16, v11
	v_fma_f32 v12, v16, v10, -v7
	v_fmac_f32_e32 v13, v17, v10
	global_store_dwordx2 v[8:9], v[12:13], off
	s_andn2_b64 exec, exec, s[8:9]
	s_cbranch_execnz .LBB7_2
.LBB7_3:
	s_or_b64 exec, exec, s[16:17]
	s_cmp_lg_u64 s[0:1], 0
	s_cbranch_scc0 .LBB7_7
; %bb.4:
	s_mul_i32 s8, s2, s15
	v_cmp_gt_i32_e32 vcc, s8, v0
	s_and_saveexec_b64 s[14:15], vcc
	s_cbranch_execz .LBB7_7
; %bb.5:
	s_mul_i32 s9, s6, s11
	s_mul_hi_u32 s11, s6, s10
	s_add_i32 s9, s11, s9
	s_mul_i32 s7, s7, s10
	s_add_i32 s7, s9, s7
	s_mul_i32 s6, s6, s10
	s_lshl_b64 s[6:7], s[6:7], 2
	s_add_u32 s6, s0, s6
	s_addc_u32 s10, s1, s7
	s_abs_i32 s7, s2
	v_cvt_f32_u32_e32 v1, s7
	s_load_dword s0, s[4:5], 0x64
	s_sub_i32 s1, 0, s7
	v_mov_b32_e32 v3, s10
	v_rcp_iflag_f32_e32 v1, v1
	v_mov_b32_e32 v4, s20
	s_waitcnt lgkmcnt(0)
	s_and_b32 s4, s0, 0xffff
	s_lshl_b32 s0, s2, 1
	v_mul_f32_e32 v1, 0x4f7ffffe, v1
	v_cvt_u32_f32_e32 v1, v1
	s_sub_i32 s5, 0, s0
	s_lshl_b32 s9, s4, 1
	s_sub_i32 s2, 0, s2
	v_mul_lo_u32 v2, s1, v1
	v_mul_hi_u32 v2, v1, v2
	v_add_u32_e32 v1, v1, v2
	v_lshlrev_b32_e32 v2, 1, v0
	s_mov_b64 s[0:1], 0
	v_mov_b32_e32 v5, s21
.LBB7_6:                                ; =>This Inner Loop Header: Depth=1
	v_sub_u32_e32 v7, 0, v0
	v_max_i32_e32 v7, v0, v7
	v_mul_hi_u32 v8, v7, v1
	v_mul_lo_u32 v9, v8, s7
	v_sub_u32_e32 v7, v7, v9
	v_add_u32_e32 v10, 1, v8
	v_cmp_le_u32_e32 vcc, s7, v7
	v_subrev_u32_e32 v9, s7, v7
	v_cndmask_b32_e32 v8, v8, v10, vcc
	v_cndmask_b32_e32 v7, v7, v9, vcc
	v_ashrrev_i32_e32 v6, 31, v0
	v_add_u32_e32 v9, 1, v8
	v_cmp_le_u32_e32 vcc, s7, v7
	v_xor_b32_e32 v6, s3, v6
	v_cndmask_b32_e32 v7, v8, v9, vcc
	v_xor_b32_e32 v7, v7, v6
	v_sub_u32_e32 v10, v7, v6
	v_mad_u64_u32 v[8:9], s[10:11], s2, v10, v[0:1]
	v_ashrrev_i32_e32 v12, 31, v10
	v_ashrrev_i32_e32 v9, 31, v8
	v_mul_lo_u32 v13, v10, s13
	v_mad_u64_u32 v[6:7], s[10:11], v10, s12, 0
	v_mul_lo_u32 v12, v12, s12
	v_lshlrev_b64 v[8:9], 2, v[8:9]
	v_add3_u32 v7, v7, v13, v12
	v_add_co_u32_e32 v12, vcc, s18, v8
	v_addc_co_u32_e32 v13, vcc, v4, v9, vcc
	v_add_co_u32_e32 v8, vcc, s19, v8
	v_mad_u64_u32 v[10:11], s[10:11], s5, v10, v[2:3]
	v_lshlrev_b64 v[6:7], 2, v[6:7]
	v_addc_co_u32_e32 v9, vcc, v5, v9, vcc
	v_ashrrev_i32_e32 v11, 31, v10
	v_add_co_u32_e32 v6, vcc, s6, v6
	v_lshlrev_b64 v[10:11], 2, v[10:11]
	v_addc_co_u32_e32 v7, vcc, v3, v7, vcc
	v_add_co_u32_e32 v6, vcc, v6, v10
	v_addc_co_u32_e32 v7, vcc, v7, v11, vcc
	global_load_dword v14, v[12:13], off
	global_load_dword v15, v[8:9], off
	v_add_u32_e32 v0, s4, v0
	global_load_dwordx2 v[8:9], v[6:7], off
	v_cmp_le_i32_e32 vcc, s8, v0
	v_add_u32_e32 v2, s9, v2
	s_or_b64 s[0:1], vcc, s[0:1]
	s_waitcnt vmcnt(0)
	v_mul_f32_e32 v10, v15, v9
	v_mul_f32_e32 v11, v14, v9
	v_fma_f32 v10, v14, v8, -v10
	v_fmac_f32_e32 v11, v15, v8
	global_store_dwordx2 v[6:7], v[10:11], off
	s_andn2_b64 exec, exec, s[0:1]
	s_cbranch_execnz .LBB7_6
.LBB7_7:
	s_endpgm
	.section	.rodata,"a",@progbits
	.p2align	6, 0x0
	.amdhsa_kernel _ZN4vllm31batched_rotary_embedding_kernelIfLb0EEEvPKlPT_S4_PKS3_S2_illliii
		.amdhsa_group_segment_fixed_size 0
		.amdhsa_private_segment_fixed_size 0
		.amdhsa_kernarg_size 344
		.amdhsa_user_sgpr_count 6
		.amdhsa_user_sgpr_private_segment_buffer 1
		.amdhsa_user_sgpr_dispatch_ptr 0
		.amdhsa_user_sgpr_queue_ptr 0
		.amdhsa_user_sgpr_kernarg_segment_ptr 1
		.amdhsa_user_sgpr_dispatch_id 0
		.amdhsa_user_sgpr_flat_scratch_init 0
		.amdhsa_user_sgpr_kernarg_preload_length 0
		.amdhsa_user_sgpr_kernarg_preload_offset 0
		.amdhsa_user_sgpr_private_segment_size 0
		.amdhsa_uses_dynamic_stack 0
		.amdhsa_system_sgpr_private_segment_wavefront_offset 0
		.amdhsa_system_sgpr_workgroup_id_x 1
		.amdhsa_system_sgpr_workgroup_id_y 0
		.amdhsa_system_sgpr_workgroup_id_z 0
		.amdhsa_system_sgpr_workgroup_info 0
		.amdhsa_system_vgpr_workitem_id 0
		.amdhsa_next_free_vgpr 18
		.amdhsa_next_free_sgpr 30
		.amdhsa_accum_offset 20
		.amdhsa_reserve_vcc 1
		.amdhsa_reserve_flat_scratch 0
		.amdhsa_float_round_mode_32 0
		.amdhsa_float_round_mode_16_64 0
		.amdhsa_float_denorm_mode_32 3
		.amdhsa_float_denorm_mode_16_64 3
		.amdhsa_dx10_clamp 1
		.amdhsa_ieee_mode 1
		.amdhsa_fp16_overflow 0
		.amdhsa_tg_split 0
		.amdhsa_exception_fp_ieee_invalid_op 0
		.amdhsa_exception_fp_denorm_src 0
		.amdhsa_exception_fp_ieee_div_zero 0
		.amdhsa_exception_fp_ieee_overflow 0
		.amdhsa_exception_fp_ieee_underflow 0
		.amdhsa_exception_fp_ieee_inexact 0
		.amdhsa_exception_int_div_zero 0
	.end_amdhsa_kernel
	.section	.text._ZN4vllm31batched_rotary_embedding_kernelIfLb0EEEvPKlPT_S4_PKS3_S2_illliii,"axG",@progbits,_ZN4vllm31batched_rotary_embedding_kernelIfLb0EEEvPKlPT_S4_PKS3_S2_illliii,comdat
.Lfunc_end7:
	.size	_ZN4vllm31batched_rotary_embedding_kernelIfLb0EEEvPKlPT_S4_PKS3_S2_illliii, .Lfunc_end7-_ZN4vllm31batched_rotary_embedding_kernelIfLb0EEEvPKlPT_S4_PKS3_S2_illliii
                                        ; -- End function
	.section	.AMDGPU.csdata,"",@progbits
; Kernel info:
; codeLenInByte = 1048
; NumSgprs: 34
; NumVgprs: 18
; NumAgprs: 0
; TotalNumVgprs: 18
; ScratchSize: 0
; MemoryBound: 0
; FloatMode: 240
; IeeeMode: 1
; LDSByteSize: 0 bytes/workgroup (compile time only)
; SGPRBlocks: 4
; VGPRBlocks: 2
; NumSGPRsForWavesPerEU: 34
; NumVGPRsForWavesPerEU: 18
; AccumOffset: 20
; Occupancy: 8
; WaveLimiterHint : 1
; COMPUTE_PGM_RSRC2:SCRATCH_EN: 0
; COMPUTE_PGM_RSRC2:USER_SGPR: 6
; COMPUTE_PGM_RSRC2:TRAP_HANDLER: 0
; COMPUTE_PGM_RSRC2:TGID_X_EN: 1
; COMPUTE_PGM_RSRC2:TGID_Y_EN: 0
; COMPUTE_PGM_RSRC2:TGID_Z_EN: 0
; COMPUTE_PGM_RSRC2:TIDIG_COMP_CNT: 0
; COMPUTE_PGM_RSRC3_GFX90A:ACCUM_OFFSET: 4
; COMPUTE_PGM_RSRC3_GFX90A:TG_SPLIT: 0
	.section	.text._ZN4vllm31batched_rotary_embedding_kernelIN3c104HalfELb1EEEvPKlPT_S6_PKS5_S4_illliii,"axG",@progbits,_ZN4vllm31batched_rotary_embedding_kernelIN3c104HalfELb1EEEvPKlPT_S6_PKS5_S4_illliii,comdat
	.protected	_ZN4vllm31batched_rotary_embedding_kernelIN3c104HalfELb1EEEvPKlPT_S6_PKS5_S4_illliii ; -- Begin function _ZN4vllm31batched_rotary_embedding_kernelIN3c104HalfELb1EEEvPKlPT_S6_PKS5_S4_illliii
	.globl	_ZN4vllm31batched_rotary_embedding_kernelIN3c104HalfELb1EEEvPKlPT_S6_PKS5_S4_illliii
	.p2align	8
	.type	_ZN4vllm31batched_rotary_embedding_kernelIN3c104HalfELb1EEEvPKlPT_S6_PKS5_S4_illliii,@function
_ZN4vllm31batched_rotary_embedding_kernelIN3c104HalfELb1EEEvPKlPT_S6_PKS5_S4_illliii: ; @_ZN4vllm31batched_rotary_embedding_kernelIN3c104HalfELb1EEEvPKlPT_S6_PKS5_S4_illliii
; %bb.0:
	s_load_dword s22, s[4:5], 0x28
	s_load_dwordx2 s[8:9], s[4:5], 0x20
	s_load_dwordx2 s[10:11], s[4:5], 0x0
	s_load_dwordx4 s[0:3], s[4:5], 0x10
	s_ashr_i32 s7, s6, 31
	s_waitcnt lgkmcnt(0)
	s_ashr_i32 s23, s22, 31
	s_lshl_b64 s[12:13], s[6:7], 3
	s_add_u32 s10, s10, s12
	s_addc_u32 s11, s11, s13
	s_add_u32 s18, s8, s12
	s_load_dwordx2 s[16:17], s[10:11], 0x0
	s_addc_u32 s19, s9, s13
	s_load_dwordx2 s[20:21], s[18:19], 0x0
	s_load_dwordx8 s[8:15], s[4:5], 0x30
	s_waitcnt lgkmcnt(0)
	s_add_u32 s16, s20, s16
	s_addc_u32 s17, s21, s17
	s_mul_i32 s18, s16, s23
	s_mul_hi_u32 s19, s16, s22
	s_add_i32 s18, s19, s18
	s_mul_i32 s17, s17, s22
	s_add_i32 s17, s18, s17
	s_mul_i32 s16, s16, s22
	s_lshl_b64 s[16:17], s[16:17], 1
	s_add_u32 s20, s2, s16
	s_addc_u32 s21, s3, s17
	s_lshr_b32 s2, s22, 31
	s_add_i32 s22, s22, s2
	s_ashr_i32 s16, s22, 1
	s_ashr_i32 s17, s16, 31
	s_lshl_b64 s[2:3], s[16:17], 1
	s_add_u32 s17, s20, s2
	s_mul_i32 s14, s16, s14
	s_addc_u32 s22, s21, s3
	v_cmp_gt_i32_e32 vcc, s14, v0
	s_and_saveexec_b64 s[18:19], vcc
	s_cbranch_execz .LBB8_3
; %bb.1:
	s_load_dwordx2 s[24:25], s[4:5], 0x8
	s_load_dword s26, s[4:5], 0x64
	s_mul_i32 s9, s6, s9
	s_mul_hi_u32 s23, s6, s8
	s_add_i32 s9, s23, s9
	s_mul_i32 s23, s7, s8
	s_add_i32 s9, s9, s23
	s_mul_i32 s8, s6, s8
	s_lshl_b64 s[8:9], s[8:9], 1
	s_waitcnt lgkmcnt(0)
	s_add_u32 s23, s24, s8
	s_addc_u32 s28, s25, s9
	s_abs_i32 s24, s16
	v_cvt_f32_u32_e32 v1, s24
	s_sub_i32 s8, 0, s24
	s_and_b32 s25, s26, 0xffff
	s_ashr_i32 s26, s16, 31
	v_rcp_iflag_f32_e32 v1, v1
	s_sub_i32 s27, 0, s16
	v_mov_b32_e32 v3, s28
	v_mov_b32_e32 v4, s21
	v_mul_f32_e32 v1, 0x4f7ffffe, v1
	v_cvt_u32_f32_e32 v1, v1
	v_mov_b32_e32 v5, s22
	v_mov_b32_e32 v6, s3
	v_mul_lo_u32 v2, s8, v1
	v_mul_hi_u32 v2, v1, v2
	v_add_u32_e32 v1, v1, v2
	s_mov_b64 s[8:9], 0
	v_mov_b32_e32 v2, v0
.LBB8_2:                                ; =>This Inner Loop Header: Depth=1
	v_sub_u32_e32 v8, 0, v2
	v_max_i32_e32 v8, v2, v8
	v_mul_hi_u32 v9, v8, v1
	v_mul_lo_u32 v10, v9, s24
	v_sub_u32_e32 v8, v8, v10
	v_add_u32_e32 v11, 1, v9
	v_cmp_le_u32_e32 vcc, s24, v8
	v_subrev_u32_e32 v10, s24, v8
	v_cndmask_b32_e32 v9, v9, v11, vcc
	v_cndmask_b32_e32 v8, v8, v10, vcc
	v_ashrrev_i32_e32 v7, 31, v2
	v_add_u32_e32 v10, 1, v9
	v_cmp_le_u32_e32 vcc, s24, v8
	v_xor_b32_e32 v7, s26, v7
	v_cndmask_b32_e32 v8, v9, v10, vcc
	v_xor_b32_e32 v8, v8, v7
	v_sub_u32_e32 v7, v8, v7
	v_mad_u64_u32 v[10:11], s[28:29], s27, v7, v[2:3]
	v_ashrrev_i32_e32 v11, 31, v10
	v_ashrrev_i32_e32 v12, 31, v7
	v_lshlrev_b64 v[10:11], 1, v[10:11]
	v_mul_lo_u32 v13, v7, s13
	v_mad_u64_u32 v[8:9], s[28:29], v7, s12, 0
	v_mul_lo_u32 v7, v12, s12
	v_add_co_u32_e32 v12, vcc, s20, v10
	v_add3_u32 v9, v9, v13, v7
	v_addc_co_u32_e32 v13, vcc, v4, v11, vcc
	v_add_co_u32_e32 v14, vcc, s17, v10
	v_lshlrev_b64 v[8:9], 1, v[8:9]
	v_addc_co_u32_e32 v15, vcc, v5, v11, vcc
	v_add_co_u32_e32 v7, vcc, s23, v8
	v_addc_co_u32_e32 v9, vcc, v3, v9, vcc
	v_add_co_u32_e32 v8, vcc, v7, v10
	;; [unrolled: 2-line block ×3, first 2 shown]
	global_load_ushort v16, v[12:13], off
	global_load_ushort v17, v[14:15], off
	v_addc_co_u32_e32 v11, vcc, v9, v6, vcc
	global_load_ushort v7, v[8:9], off
	global_load_ushort v12, v[10:11], off
	v_add_u32_e32 v2, s25, v2
	v_cmp_le_i32_e32 vcc, s14, v2
	s_or_b64 s[8:9], vcc, s[8:9]
	s_waitcnt vmcnt(0)
	v_mul_f16_e32 v13, v17, v12
	v_mul_f16_e32 v12, v16, v12
	v_fma_f16 v13, v16, v7, -v13
	v_fma_f16 v7, v17, v7, v12
	global_store_short v[8:9], v13, off
	global_store_short v[10:11], v7, off
	s_andn2_b64 exec, exec, s[8:9]
	s_cbranch_execnz .LBB8_2
.LBB8_3:
	s_or_b64 exec, exec, s[18:19]
	s_cmp_lg_u64 s[0:1], 0
	s_cbranch_scc0 .LBB8_7
; %bb.4:
	s_mul_i32 s8, s16, s15
	v_cmp_gt_i32_e32 vcc, s8, v0
	s_and_saveexec_b64 s[14:15], vcc
	s_cbranch_execz .LBB8_7
; %bb.5:
	s_mul_i32 s9, s6, s11
	s_mul_hi_u32 s11, s6, s10
	s_add_i32 s9, s11, s9
	s_mul_i32 s7, s7, s10
	s_add_i32 s7, s9, s7
	s_mul_i32 s6, s6, s10
	s_lshl_b64 s[6:7], s[6:7], 1
	s_add_u32 s6, s0, s6
	s_addc_u32 s10, s1, s7
	s_abs_i32 s7, s16
	v_cvt_f32_u32_e32 v1, s7
	s_load_dword s0, s[4:5], 0x64
	s_ashr_i32 s5, s16, 31
	s_sub_i32 s9, 0, s16
	v_rcp_iflag_f32_e32 v1, v1
	v_mov_b32_e32 v3, s21
	s_waitcnt lgkmcnt(0)
	s_and_b32 s4, s0, 0xffff
	s_sub_i32 s0, 0, s7
	v_mul_f32_e32 v1, 0x4f7ffffe, v1
	v_cvt_u32_f32_e32 v1, v1
	v_mov_b32_e32 v4, s22
	v_mov_b32_e32 v5, s3
	v_mul_lo_u32 v2, s0, v1
	v_mul_hi_u32 v2, v1, v2
	v_add_u32_e32 v1, v1, v2
	s_mov_b64 s[0:1], 0
	v_mov_b32_e32 v2, s10
.LBB8_6:                                ; =>This Inner Loop Header: Depth=1
	v_sub_u32_e32 v7, 0, v0
	v_max_i32_e32 v7, v0, v7
	v_mul_hi_u32 v8, v7, v1
	v_mul_lo_u32 v9, v8, s7
	v_sub_u32_e32 v7, v7, v9
	v_add_u32_e32 v10, 1, v8
	v_cmp_le_u32_e32 vcc, s7, v7
	v_subrev_u32_e32 v9, s7, v7
	v_cndmask_b32_e32 v8, v8, v10, vcc
	v_cndmask_b32_e32 v7, v7, v9, vcc
	v_ashrrev_i32_e32 v6, 31, v0
	v_add_u32_e32 v9, 1, v8
	v_cmp_le_u32_e32 vcc, s7, v7
	v_xor_b32_e32 v6, s5, v6
	v_cndmask_b32_e32 v7, v8, v9, vcc
	v_xor_b32_e32 v7, v7, v6
	v_sub_u32_e32 v8, v7, v6
	v_ashrrev_i32_e32 v10, 31, v8
	v_mul_lo_u32 v11, v8, s13
	v_mad_u64_u32 v[6:7], s[10:11], v8, s12, 0
	v_mad_u64_u32 v[8:9], s[10:11], s9, v8, v[0:1]
	v_ashrrev_i32_e32 v9, 31, v8
	v_mul_lo_u32 v10, v10, s12
	v_lshlrev_b64 v[8:9], 1, v[8:9]
	v_add3_u32 v7, v7, v11, v10
	v_add_co_u32_e32 v10, vcc, s20, v8
	v_addc_co_u32_e32 v11, vcc, v3, v9, vcc
	v_add_co_u32_e32 v12, vcc, s17, v8
	v_lshlrev_b64 v[6:7], 1, v[6:7]
	v_addc_co_u32_e32 v13, vcc, v4, v9, vcc
	v_add_co_u32_e32 v6, vcc, s6, v6
	v_addc_co_u32_e32 v7, vcc, v2, v7, vcc
	v_add_co_u32_e32 v6, vcc, v6, v8
	;; [unrolled: 2-line block ×3, first 2 shown]
	global_load_ushort v14, v[10:11], off
	global_load_ushort v15, v[12:13], off
	v_addc_co_u32_e32 v9, vcc, v7, v5, vcc
	global_load_ushort v10, v[6:7], off
	global_load_ushort v11, v[8:9], off
	v_add_u32_e32 v0, s4, v0
	v_cmp_le_i32_e32 vcc, s8, v0
	s_or_b64 s[0:1], vcc, s[0:1]
	s_waitcnt vmcnt(0)
	v_mul_f16_e32 v12, v15, v11
	v_mul_f16_e32 v11, v14, v11
	v_fma_f16 v12, v14, v10, -v12
	v_fma_f16 v10, v15, v10, v11
	global_store_short v[6:7], v12, off
	global_store_short v[8:9], v10, off
	s_andn2_b64 exec, exec, s[0:1]
	s_cbranch_execnz .LBB8_6
.LBB8_7:
	s_endpgm
	.section	.rodata,"a",@progbits
	.p2align	6, 0x0
	.amdhsa_kernel _ZN4vllm31batched_rotary_embedding_kernelIN3c104HalfELb1EEEvPKlPT_S6_PKS5_S4_illliii
		.amdhsa_group_segment_fixed_size 0
		.amdhsa_private_segment_fixed_size 0
		.amdhsa_kernarg_size 344
		.amdhsa_user_sgpr_count 6
		.amdhsa_user_sgpr_private_segment_buffer 1
		.amdhsa_user_sgpr_dispatch_ptr 0
		.amdhsa_user_sgpr_queue_ptr 0
		.amdhsa_user_sgpr_kernarg_segment_ptr 1
		.amdhsa_user_sgpr_dispatch_id 0
		.amdhsa_user_sgpr_flat_scratch_init 0
		.amdhsa_user_sgpr_kernarg_preload_length 0
		.amdhsa_user_sgpr_kernarg_preload_offset 0
		.amdhsa_user_sgpr_private_segment_size 0
		.amdhsa_uses_dynamic_stack 0
		.amdhsa_system_sgpr_private_segment_wavefront_offset 0
		.amdhsa_system_sgpr_workgroup_id_x 1
		.amdhsa_system_sgpr_workgroup_id_y 0
		.amdhsa_system_sgpr_workgroup_id_z 0
		.amdhsa_system_sgpr_workgroup_info 0
		.amdhsa_system_vgpr_workitem_id 0
		.amdhsa_next_free_vgpr 18
		.amdhsa_next_free_sgpr 30
		.amdhsa_accum_offset 20
		.amdhsa_reserve_vcc 1
		.amdhsa_reserve_flat_scratch 0
		.amdhsa_float_round_mode_32 0
		.amdhsa_float_round_mode_16_64 0
		.amdhsa_float_denorm_mode_32 3
		.amdhsa_float_denorm_mode_16_64 3
		.amdhsa_dx10_clamp 1
		.amdhsa_ieee_mode 1
		.amdhsa_fp16_overflow 0
		.amdhsa_tg_split 0
		.amdhsa_exception_fp_ieee_invalid_op 0
		.amdhsa_exception_fp_denorm_src 0
		.amdhsa_exception_fp_ieee_div_zero 0
		.amdhsa_exception_fp_ieee_overflow 0
		.amdhsa_exception_fp_ieee_underflow 0
		.amdhsa_exception_fp_ieee_inexact 0
		.amdhsa_exception_int_div_zero 0
	.end_amdhsa_kernel
	.section	.text._ZN4vllm31batched_rotary_embedding_kernelIN3c104HalfELb1EEEvPKlPT_S6_PKS5_S4_illliii,"axG",@progbits,_ZN4vllm31batched_rotary_embedding_kernelIN3c104HalfELb1EEEvPKlPT_S6_PKS5_S4_illliii,comdat
.Lfunc_end8:
	.size	_ZN4vllm31batched_rotary_embedding_kernelIN3c104HalfELb1EEEvPKlPT_S6_PKS5_S4_illliii, .Lfunc_end8-_ZN4vllm31batched_rotary_embedding_kernelIN3c104HalfELb1EEEvPKlPT_S6_PKS5_S4_illliii
                                        ; -- End function
	.section	.AMDGPU.csdata,"",@progbits
; Kernel info:
; codeLenInByte = 1040
; NumSgprs: 34
; NumVgprs: 18
; NumAgprs: 0
; TotalNumVgprs: 18
; ScratchSize: 0
; MemoryBound: 0
; FloatMode: 240
; IeeeMode: 1
; LDSByteSize: 0 bytes/workgroup (compile time only)
; SGPRBlocks: 4
; VGPRBlocks: 2
; NumSGPRsForWavesPerEU: 34
; NumVGPRsForWavesPerEU: 18
; AccumOffset: 20
; Occupancy: 8
; WaveLimiterHint : 1
; COMPUTE_PGM_RSRC2:SCRATCH_EN: 0
; COMPUTE_PGM_RSRC2:USER_SGPR: 6
; COMPUTE_PGM_RSRC2:TRAP_HANDLER: 0
; COMPUTE_PGM_RSRC2:TGID_X_EN: 1
; COMPUTE_PGM_RSRC2:TGID_Y_EN: 0
; COMPUTE_PGM_RSRC2:TGID_Z_EN: 0
; COMPUTE_PGM_RSRC2:TIDIG_COMP_CNT: 0
; COMPUTE_PGM_RSRC3_GFX90A:ACCUM_OFFSET: 4
; COMPUTE_PGM_RSRC3_GFX90A:TG_SPLIT: 0
	.section	.text._ZN4vllm31batched_rotary_embedding_kernelIN3c104HalfELb0EEEvPKlPT_S6_PKS5_S4_illliii,"axG",@progbits,_ZN4vllm31batched_rotary_embedding_kernelIN3c104HalfELb0EEEvPKlPT_S6_PKS5_S4_illliii,comdat
	.protected	_ZN4vllm31batched_rotary_embedding_kernelIN3c104HalfELb0EEEvPKlPT_S6_PKS5_S4_illliii ; -- Begin function _ZN4vllm31batched_rotary_embedding_kernelIN3c104HalfELb0EEEvPKlPT_S6_PKS5_S4_illliii
	.globl	_ZN4vllm31batched_rotary_embedding_kernelIN3c104HalfELb0EEEvPKlPT_S6_PKS5_S4_illliii
	.p2align	8
	.type	_ZN4vllm31batched_rotary_embedding_kernelIN3c104HalfELb0EEEvPKlPT_S6_PKS5_S4_illliii,@function
_ZN4vllm31batched_rotary_embedding_kernelIN3c104HalfELb0EEEvPKlPT_S6_PKS5_S4_illliii: ; @_ZN4vllm31batched_rotary_embedding_kernelIN3c104HalfELb0EEEvPKlPT_S6_PKS5_S4_illliii
; %bb.0:
	s_load_dword s22, s[4:5], 0x28
	s_load_dwordx2 s[8:9], s[4:5], 0x20
	s_load_dwordx2 s[10:11], s[4:5], 0x0
	s_load_dwordx4 s[0:3], s[4:5], 0x10
	s_ashr_i32 s7, s6, 31
	s_waitcnt lgkmcnt(0)
	s_ashr_i32 s23, s22, 31
	s_lshl_b64 s[12:13], s[6:7], 3
	s_add_u32 s10, s10, s12
	s_addc_u32 s11, s11, s13
	s_add_u32 s18, s8, s12
	s_load_dwordx2 s[16:17], s[10:11], 0x0
	s_addc_u32 s19, s9, s13
	s_load_dwordx2 s[20:21], s[18:19], 0x0
	s_load_dwordx8 s[8:15], s[4:5], 0x30
	s_waitcnt lgkmcnt(0)
	s_add_u32 s16, s20, s16
	s_addc_u32 s17, s21, s17
	s_mul_i32 s18, s16, s23
	s_mul_hi_u32 s19, s16, s22
	s_add_i32 s18, s19, s18
	s_mul_i32 s17, s17, s22
	s_add_i32 s17, s18, s17
	s_mul_i32 s16, s16, s22
	s_lshl_b64 s[16:17], s[16:17], 1
	s_add_u32 s18, s2, s16
	s_addc_u32 s20, s3, s17
	s_lshr_b32 s2, s22, 31
	s_add_i32 s22, s22, s2
	s_ashr_i32 s2, s22, 1
	s_ashr_i32 s3, s2, 31
	s_lshl_b64 s[16:17], s[2:3], 1
	s_add_u32 s19, s18, s16
	s_mul_i32 s14, s2, s14
	s_addc_u32 s21, s20, s17
	v_cmp_gt_i32_e32 vcc, s14, v0
	s_and_saveexec_b64 s[16:17], vcc
	s_cbranch_execz .LBB9_3
; %bb.1:
	s_mul_i32 s9, s6, s9
	s_mul_hi_u32 s22, s6, s8
	s_add_i32 s9, s22, s9
	s_load_dwordx2 s[22:23], s[4:5], 0x8
	s_mul_i32 s24, s7, s8
	s_add_i32 s9, s9, s24
	s_load_dword s24, s[4:5], 0x64
	s_mul_i32 s8, s6, s8
	s_lshl_b64 s[8:9], s[8:9], 1
	s_waitcnt lgkmcnt(0)
	s_add_u32 s22, s22, s8
	s_addc_u32 s28, s23, s9
	s_abs_i32 s23, s2
	v_cvt_f32_u32_e32 v1, s23
	s_sub_i32 s9, 0, s23
	s_and_b32 s24, s24, 0xffff
	s_lshl_b32 s8, s2, 1
	v_rcp_iflag_f32_e32 v1, v1
	s_sub_i32 s25, 0, s8
	s_lshl_b32 s26, s24, 1
	s_sub_i32 s27, 0, s2
	v_mul_f32_e32 v1, 0x4f7ffffe, v1
	v_cvt_u32_f32_e32 v1, v1
	v_mov_b32_e32 v3, s28
	v_mov_b32_e32 v5, s20
	;; [unrolled: 1-line block ×3, first 2 shown]
	v_mul_lo_u32 v2, s9, v1
	v_mul_hi_u32 v2, v1, v2
	v_add_u32_e32 v1, v1, v2
	v_lshlrev_b32_e32 v2, 1, v0
	s_mov_b64 s[8:9], 0
	v_mov_b32_e32 v4, v0
.LBB9_2:                                ; =>This Inner Loop Header: Depth=1
	v_sub_u32_e32 v8, 0, v4
	v_max_i32_e32 v8, v4, v8
	v_mul_hi_u32 v9, v8, v1
	v_mul_lo_u32 v10, v9, s23
	v_sub_u32_e32 v8, v8, v10
	v_add_u32_e32 v11, 1, v9
	v_cmp_le_u32_e32 vcc, s23, v8
	v_subrev_u32_e32 v10, s23, v8
	v_cndmask_b32_e32 v9, v9, v11, vcc
	v_cndmask_b32_e32 v8, v8, v10, vcc
	v_ashrrev_i32_e32 v7, 31, v4
	v_add_u32_e32 v10, 1, v9
	v_cmp_le_u32_e32 vcc, s23, v8
	v_xor_b32_e32 v7, s3, v7
	v_cndmask_b32_e32 v8, v9, v10, vcc
	v_xor_b32_e32 v8, v8, v7
	v_sub_u32_e32 v7, v8, v7
	v_mad_u64_u32 v[10:11], s[28:29], s27, v7, v[4:5]
	v_ashrrev_i32_e32 v11, 31, v10
	v_ashrrev_i32_e32 v14, 31, v7
	v_lshlrev_b64 v[10:11], 1, v[10:11]
	v_mul_lo_u32 v15, v7, s13
	v_mad_u64_u32 v[8:9], s[28:29], v7, s12, 0
	v_mad_u64_u32 v[12:13], s[28:29], s25, v7, v[2:3]
	v_mul_lo_u32 v7, v14, s12
	v_add_co_u32_e32 v14, vcc, s18, v10
	v_add3_u32 v9, v9, v15, v7
	v_addc_co_u32_e32 v15, vcc, v5, v11, vcc
	v_add_co_u32_e32 v10, vcc, s19, v10
	v_lshlrev_b64 v[8:9], 1, v[8:9]
	v_addc_co_u32_e32 v11, vcc, v6, v11, vcc
	v_ashrrev_i32_e32 v13, 31, v12
	v_add_co_u32_e32 v7, vcc, s22, v8
	v_lshlrev_b64 v[12:13], 1, v[12:13]
	v_addc_co_u32_e32 v9, vcc, v3, v9, vcc
	v_add_co_u32_e32 v8, vcc, v7, v12
	v_addc_co_u32_e32 v9, vcc, v9, v13, vcc
	global_load_ushort v16, v[14:15], off
	global_load_ushort v17, v[10:11], off
	global_load_dword v7, v[8:9], off
	v_add_u32_e32 v4, s24, v4
	v_cmp_le_i32_e32 vcc, s14, v4
	v_add_u32_e32 v2, s26, v2
	s_or_b64 s[8:9], vcc, s[8:9]
	s_waitcnt vmcnt(0)
	v_mul_f16_sdwa v10, v17, v7 dst_sel:DWORD dst_unused:UNUSED_PAD src0_sel:DWORD src1_sel:WORD_1
	v_mul_f16_sdwa v11, v16, v7 dst_sel:DWORD dst_unused:UNUSED_PAD src0_sel:DWORD src1_sel:WORD_1
	v_fma_f16 v10, v16, v7, -v10
	v_fma_f16 v7, v17, v7, v11
	v_pack_b32_f16 v7, v10, v7
	global_store_dword v[8:9], v7, off
	s_andn2_b64 exec, exec, s[8:9]
	s_cbranch_execnz .LBB9_2
.LBB9_3:
	s_or_b64 exec, exec, s[16:17]
	s_cmp_lg_u64 s[0:1], 0
	s_cbranch_scc0 .LBB9_7
; %bb.4:
	s_mul_i32 s8, s2, s15
	v_cmp_gt_i32_e32 vcc, s8, v0
	s_and_saveexec_b64 s[14:15], vcc
	s_cbranch_execz .LBB9_7
; %bb.5:
	s_mul_i32 s9, s6, s11
	s_mul_hi_u32 s11, s6, s10
	s_add_i32 s9, s11, s9
	s_mul_i32 s7, s7, s10
	s_add_i32 s7, s9, s7
	s_mul_i32 s6, s6, s10
	s_lshl_b64 s[6:7], s[6:7], 1
	s_add_u32 s6, s0, s6
	s_addc_u32 s10, s1, s7
	s_abs_i32 s7, s2
	v_cvt_f32_u32_e32 v1, s7
	s_load_dword s0, s[4:5], 0x64
	s_sub_i32 s1, 0, s7
	v_mov_b32_e32 v3, s10
	v_rcp_iflag_f32_e32 v1, v1
	v_mov_b32_e32 v4, s20
	s_waitcnt lgkmcnt(0)
	s_and_b32 s4, s0, 0xffff
	s_lshl_b32 s0, s2, 1
	v_mul_f32_e32 v1, 0x4f7ffffe, v1
	v_cvt_u32_f32_e32 v1, v1
	s_sub_i32 s5, 0, s0
	s_lshl_b32 s9, s4, 1
	s_sub_i32 s2, 0, s2
	v_mul_lo_u32 v2, s1, v1
	v_mul_hi_u32 v2, v1, v2
	v_add_u32_e32 v1, v1, v2
	v_lshlrev_b32_e32 v2, 1, v0
	s_mov_b64 s[0:1], 0
	v_mov_b32_e32 v5, s21
.LBB9_6:                                ; =>This Inner Loop Header: Depth=1
	v_sub_u32_e32 v7, 0, v0
	v_max_i32_e32 v7, v0, v7
	v_mul_hi_u32 v8, v7, v1
	v_mul_lo_u32 v9, v8, s7
	v_sub_u32_e32 v7, v7, v9
	v_add_u32_e32 v10, 1, v8
	v_cmp_le_u32_e32 vcc, s7, v7
	v_subrev_u32_e32 v9, s7, v7
	v_cndmask_b32_e32 v8, v8, v10, vcc
	v_cndmask_b32_e32 v7, v7, v9, vcc
	v_ashrrev_i32_e32 v6, 31, v0
	v_add_u32_e32 v9, 1, v8
	v_cmp_le_u32_e32 vcc, s7, v7
	v_xor_b32_e32 v6, s3, v6
	v_cndmask_b32_e32 v7, v8, v9, vcc
	v_xor_b32_e32 v7, v7, v6
	v_sub_u32_e32 v10, v7, v6
	v_mad_u64_u32 v[8:9], s[10:11], s2, v10, v[0:1]
	v_ashrrev_i32_e32 v12, 31, v10
	v_ashrrev_i32_e32 v9, 31, v8
	v_mul_lo_u32 v13, v10, s13
	v_mad_u64_u32 v[6:7], s[10:11], v10, s12, 0
	v_mul_lo_u32 v12, v12, s12
	v_lshlrev_b64 v[8:9], 1, v[8:9]
	v_add3_u32 v7, v7, v13, v12
	v_add_co_u32_e32 v12, vcc, s18, v8
	v_addc_co_u32_e32 v13, vcc, v4, v9, vcc
	v_add_co_u32_e32 v8, vcc, s19, v8
	v_mad_u64_u32 v[10:11], s[10:11], s5, v10, v[2:3]
	v_lshlrev_b64 v[6:7], 1, v[6:7]
	v_addc_co_u32_e32 v9, vcc, v5, v9, vcc
	v_ashrrev_i32_e32 v11, 31, v10
	v_add_co_u32_e32 v6, vcc, s6, v6
	v_lshlrev_b64 v[10:11], 1, v[10:11]
	v_addc_co_u32_e32 v7, vcc, v3, v7, vcc
	v_add_co_u32_e32 v6, vcc, v6, v10
	v_addc_co_u32_e32 v7, vcc, v7, v11, vcc
	global_load_ushort v14, v[12:13], off
	global_load_ushort v15, v[8:9], off
	v_add_u32_e32 v0, s4, v0
	global_load_dword v8, v[6:7], off
	v_cmp_le_i32_e32 vcc, s8, v0
	v_add_u32_e32 v2, s9, v2
	s_or_b64 s[0:1], vcc, s[0:1]
	s_waitcnt vmcnt(0)
	v_mul_f16_sdwa v9, v15, v8 dst_sel:DWORD dst_unused:UNUSED_PAD src0_sel:DWORD src1_sel:WORD_1
	v_mul_f16_sdwa v10, v14, v8 dst_sel:DWORD dst_unused:UNUSED_PAD src0_sel:DWORD src1_sel:WORD_1
	v_fma_f16 v9, v14, v8, -v9
	v_fma_f16 v8, v15, v8, v10
	v_pack_b32_f16 v8, v9, v8
	global_store_dword v[6:7], v8, off
	s_andn2_b64 exec, exec, s[0:1]
	s_cbranch_execnz .LBB9_6
.LBB9_7:
	s_endpgm
	.section	.rodata,"a",@progbits
	.p2align	6, 0x0
	.amdhsa_kernel _ZN4vllm31batched_rotary_embedding_kernelIN3c104HalfELb0EEEvPKlPT_S6_PKS5_S4_illliii
		.amdhsa_group_segment_fixed_size 0
		.amdhsa_private_segment_fixed_size 0
		.amdhsa_kernarg_size 344
		.amdhsa_user_sgpr_count 6
		.amdhsa_user_sgpr_private_segment_buffer 1
		.amdhsa_user_sgpr_dispatch_ptr 0
		.amdhsa_user_sgpr_queue_ptr 0
		.amdhsa_user_sgpr_kernarg_segment_ptr 1
		.amdhsa_user_sgpr_dispatch_id 0
		.amdhsa_user_sgpr_flat_scratch_init 0
		.amdhsa_user_sgpr_kernarg_preload_length 0
		.amdhsa_user_sgpr_kernarg_preload_offset 0
		.amdhsa_user_sgpr_private_segment_size 0
		.amdhsa_uses_dynamic_stack 0
		.amdhsa_system_sgpr_private_segment_wavefront_offset 0
		.amdhsa_system_sgpr_workgroup_id_x 1
		.amdhsa_system_sgpr_workgroup_id_y 0
		.amdhsa_system_sgpr_workgroup_id_z 0
		.amdhsa_system_sgpr_workgroup_info 0
		.amdhsa_system_vgpr_workitem_id 0
		.amdhsa_next_free_vgpr 18
		.amdhsa_next_free_sgpr 30
		.amdhsa_accum_offset 20
		.amdhsa_reserve_vcc 1
		.amdhsa_reserve_flat_scratch 0
		.amdhsa_float_round_mode_32 0
		.amdhsa_float_round_mode_16_64 0
		.amdhsa_float_denorm_mode_32 3
		.amdhsa_float_denorm_mode_16_64 3
		.amdhsa_dx10_clamp 1
		.amdhsa_ieee_mode 1
		.amdhsa_fp16_overflow 0
		.amdhsa_tg_split 0
		.amdhsa_exception_fp_ieee_invalid_op 0
		.amdhsa_exception_fp_denorm_src 0
		.amdhsa_exception_fp_ieee_div_zero 0
		.amdhsa_exception_fp_ieee_overflow 0
		.amdhsa_exception_fp_ieee_underflow 0
		.amdhsa_exception_fp_ieee_inexact 0
		.amdhsa_exception_int_div_zero 0
	.end_amdhsa_kernel
	.section	.text._ZN4vllm31batched_rotary_embedding_kernelIN3c104HalfELb0EEEvPKlPT_S6_PKS5_S4_illliii,"axG",@progbits,_ZN4vllm31batched_rotary_embedding_kernelIN3c104HalfELb0EEEvPKlPT_S6_PKS5_S4_illliii,comdat
.Lfunc_end9:
	.size	_ZN4vllm31batched_rotary_embedding_kernelIN3c104HalfELb0EEEvPKlPT_S6_PKS5_S4_illliii, .Lfunc_end9-_ZN4vllm31batched_rotary_embedding_kernelIN3c104HalfELb0EEEvPKlPT_S6_PKS5_S4_illliii
                                        ; -- End function
	.section	.AMDGPU.csdata,"",@progbits
; Kernel info:
; codeLenInByte = 1088
; NumSgprs: 34
; NumVgprs: 18
; NumAgprs: 0
; TotalNumVgprs: 18
; ScratchSize: 0
; MemoryBound: 0
; FloatMode: 240
; IeeeMode: 1
; LDSByteSize: 0 bytes/workgroup (compile time only)
; SGPRBlocks: 4
; VGPRBlocks: 2
; NumSGPRsForWavesPerEU: 34
; NumVGPRsForWavesPerEU: 18
; AccumOffset: 20
; Occupancy: 8
; WaveLimiterHint : 1
; COMPUTE_PGM_RSRC2:SCRATCH_EN: 0
; COMPUTE_PGM_RSRC2:USER_SGPR: 6
; COMPUTE_PGM_RSRC2:TRAP_HANDLER: 0
; COMPUTE_PGM_RSRC2:TGID_X_EN: 1
; COMPUTE_PGM_RSRC2:TGID_Y_EN: 0
; COMPUTE_PGM_RSRC2:TGID_Z_EN: 0
; COMPUTE_PGM_RSRC2:TIDIG_COMP_CNT: 0
; COMPUTE_PGM_RSRC3_GFX90A:ACCUM_OFFSET: 4
; COMPUTE_PGM_RSRC3_GFX90A:TG_SPLIT: 0
	.section	.text._ZN4vllm31batched_rotary_embedding_kernelIN3c108BFloat16ELb1EEEvPKlPT_S6_PKS5_S4_illliii,"axG",@progbits,_ZN4vllm31batched_rotary_embedding_kernelIN3c108BFloat16ELb1EEEvPKlPT_S6_PKS5_S4_illliii,comdat
	.protected	_ZN4vllm31batched_rotary_embedding_kernelIN3c108BFloat16ELb1EEEvPKlPT_S6_PKS5_S4_illliii ; -- Begin function _ZN4vllm31batched_rotary_embedding_kernelIN3c108BFloat16ELb1EEEvPKlPT_S6_PKS5_S4_illliii
	.globl	_ZN4vllm31batched_rotary_embedding_kernelIN3c108BFloat16ELb1EEEvPKlPT_S6_PKS5_S4_illliii
	.p2align	8
	.type	_ZN4vllm31batched_rotary_embedding_kernelIN3c108BFloat16ELb1EEEvPKlPT_S6_PKS5_S4_illliii,@function
_ZN4vllm31batched_rotary_embedding_kernelIN3c108BFloat16ELb1EEEvPKlPT_S6_PKS5_S4_illliii: ; @_ZN4vllm31batched_rotary_embedding_kernelIN3c108BFloat16ELb1EEEvPKlPT_S6_PKS5_S4_illliii
; %bb.0:
	s_load_dword s22, s[4:5], 0x28
	s_load_dwordx2 s[0:1], s[4:5], 0x20
	s_load_dwordx2 s[2:3], s[4:5], 0x0
	s_load_dwordx4 s[16:19], s[4:5], 0x10
	s_ashr_i32 s7, s6, 31
	s_waitcnt lgkmcnt(0)
	s_ashr_i32 s23, s22, 31
	s_lshl_b64 s[8:9], s[6:7], 3
	s_add_u32 s2, s2, s8
	s_addc_u32 s3, s3, s9
	s_add_u32 s0, s0, s8
	s_load_dwordx2 s[2:3], s[2:3], 0x0
	s_addc_u32 s1, s1, s9
	s_load_dwordx2 s[20:21], s[0:1], 0x0
	s_load_dwordx8 s[8:15], s[4:5], 0x30
	s_waitcnt lgkmcnt(0)
	s_add_u32 s0, s20, s2
	s_addc_u32 s1, s21, s3
	s_mul_i32 s2, s0, s23
	s_mul_hi_u32 s3, s0, s22
	s_add_i32 s2, s3, s2
	s_mul_i32 s1, s1, s22
	s_add_i32 s1, s2, s1
	s_mul_i32 s0, s0, s22
	s_lshl_b64 s[0:1], s[0:1], 1
	s_add_u32 s26, s18, s0
	s_addc_u32 s27, s19, s1
	s_lshr_b32 s0, s22, 31
	s_add_i32 s22, s22, s0
	s_ashr_i32 s20, s22, 1
	s_ashr_i32 s21, s20, 31
	s_lshl_b64 s[18:19], s[20:21], 1
	s_add_u32 s21, s26, s18
	s_mul_i32 s14, s20, s14
	s_addc_u32 s28, s27, s19
	v_cmp_gt_i32_e32 vcc, s14, v0
	s_and_saveexec_b64 s[22:23], vcc
	s_cbranch_execz .LBB10_3
; %bb.1:
	s_mul_i32 s0, s6, s9
	s_mul_hi_u32 s1, s6, s8
	s_add_i32 s2, s1, s0
	s_load_dwordx2 s[0:1], s[4:5], 0x8
	s_mul_i32 s3, s7, s8
	s_add_i32 s3, s2, s3
	s_mul_i32 s2, s6, s8
	s_load_dword s8, s[4:5], 0x64
	s_lshl_b64 s[2:3], s[2:3], 1
	s_waitcnt lgkmcnt(0)
	s_add_u32 s29, s0, s2
	s_addc_u32 s0, s1, s3
	s_abs_i32 s30, s20
	v_cvt_f32_u32_e32 v1, s30
	s_sub_i32 s1, 0, s30
	s_and_b32 s31, s8, 0xffff
	s_ashr_i32 s33, s20, 31
	v_rcp_iflag_f32_e32 v1, v1
	s_sub_i32 s34, 0, s20
	s_mov_b64 s[24:25], 0
	v_mov_b32_e32 v3, s0
	v_mul_f32_e32 v1, 0x4f7ffffe, v1
	v_cvt_u32_f32_e32 v1, v1
	v_mov_b32_e32 v4, s27
	v_mov_b32_e32 v5, s28
	s_movk_i32 s35, 0x7fff
	v_mul_lo_u32 v2, s1, v1
	v_mul_hi_u32 v2, v1, v2
	v_add_u32_e32 v1, v1, v2
	v_mov_b32_e32 v6, 0x7fc00000
	v_mov_b32_e32 v7, 0x7fc0
	;; [unrolled: 1-line block ×4, first 2 shown]
.LBB10_2:                               ; =>This Inner Loop Header: Depth=1
	v_sub_u32_e32 v10, 0, v2
	v_max_i32_e32 v10, v2, v10
	v_mul_hi_u32 v11, v10, v1
	v_mul_lo_u32 v12, v11, s30
	v_sub_u32_e32 v10, v10, v12
	v_add_u32_e32 v13, 1, v11
	v_cmp_le_u32_e32 vcc, s30, v10
	v_subrev_u32_e32 v12, s30, v10
	v_cndmask_b32_e32 v11, v11, v13, vcc
	v_cndmask_b32_e32 v10, v10, v12, vcc
	v_ashrrev_i32_e32 v9, 31, v2
	v_add_u32_e32 v12, 1, v11
	v_cmp_le_u32_e32 vcc, s30, v10
	v_xor_b32_e32 v9, s33, v9
	v_cndmask_b32_e32 v10, v11, v12, vcc
	v_xor_b32_e32 v10, v10, v9
	v_sub_u32_e32 v9, v10, v9
	v_mad_u64_u32 v[12:13], s[0:1], s34, v9, v[2:3]
	v_ashrrev_i32_e32 v13, 31, v12
	v_ashrrev_i32_e32 v14, 31, v9
	v_lshlrev_b64 v[12:13], 1, v[12:13]
	v_mul_lo_u32 v15, v9, s13
	v_mad_u64_u32 v[10:11], s[0:1], v9, s12, 0
	v_mul_lo_u32 v9, v14, s12
	v_add_co_u32_e32 v14, vcc, s26, v12
	v_add3_u32 v11, v11, v15, v9
	v_addc_co_u32_e32 v15, vcc, v4, v13, vcc
	v_add_co_u32_e32 v16, vcc, s21, v12
	v_lshlrev_b64 v[10:11], 1, v[10:11]
	v_addc_co_u32_e32 v17, vcc, v5, v13, vcc
	v_add_co_u32_e32 v9, vcc, s29, v10
	v_addc_co_u32_e32 v11, vcc, v3, v11, vcc
	v_add_co_u32_e32 v10, vcc, v9, v12
	v_addc_co_u32_e32 v11, vcc, v11, v13, vcc
	global_load_ushort v18, v[16:17], off
	global_load_ushort v19, v[14:15], off
	v_add_co_u32_e32 v12, vcc, s18, v10
	v_addc_co_u32_e32 v13, vcc, v11, v8, vcc
	global_load_ushort v9, v[10:11], off
	global_load_ushort v20, v[12:13], off
	v_add_u32_e32 v2, s31, v2
	v_cmp_le_i32_e32 vcc, s14, v2
	s_or_b64 s[24:25], vcc, s[24:25]
	s_waitcnt vmcnt(3)
	v_lshlrev_b32_e32 v14, 16, v18
	s_waitcnt vmcnt(2)
	v_lshlrev_b32_e32 v15, 16, v19
	v_mov_b32_e32 v16, v15
	v_mov_b32_e32 v17, v14
	s_waitcnt vmcnt(1)
	v_lshlrev_b32_e32 v18, 16, v9
	s_waitcnt vmcnt(0)
	v_lshlrev_b32_e32 v19, 16, v20
	v_pk_mul_f32 v[16:17], v[16:17], v[18:19]
	v_pk_mul_f32 v[14:15], v[14:15], v[18:19]
	v_bfe_u32 v9, v16, 16, 1
	v_bfe_u32 v18, v17, 16, 1
	;; [unrolled: 1-line block ×4, first 2 shown]
	v_add3_u32 v18, v17, v18, s35
	v_add3_u32 v9, v16, v9, s35
	v_add3_u32 v20, v15, v20, s35
	v_add3_u32 v19, v14, v19, s35
	v_and_b32_e32 v9, 0xffff0000, v9
	v_and_b32_e32 v18, 0xffff0000, v18
	v_cmp_o_f32_e32 vcc, v16, v16
	v_cmp_o_f32_e64 s[8:9], v17, v17
	v_and_b32_e32 v16, 0xffff0000, v19
	v_and_b32_e32 v19, 0xffff0000, v20
	v_cmp_o_f32_e64 s[0:1], v15, v15
	v_cmp_o_f32_e64 s[2:3], v14, v14
	v_cndmask_b32_e64 v14, v6, v18, s[8:9]
	v_cndmask_b32_e32 v9, v6, v9, vcc
	v_cndmask_b32_e64 v15, v6, v19, s[0:1]
	v_cndmask_b32_e64 v16, v6, v16, s[2:3]
	v_sub_f32_e32 v9, v9, v14
	v_add_f32_e32 v14, v16, v15
	v_bfe_u32 v15, v9, 16, 1
	v_bfe_u32 v16, v14, 16, 1
	v_add3_u32 v15, v9, v15, s35
	v_add3_u32 v16, v14, v16, s35
	v_lshrrev_b32_e32 v15, 16, v15
	v_cmp_o_f32_e64 s[0:1], v9, v9
	v_lshrrev_b32_e32 v16, 16, v16
	v_cmp_o_f32_e32 vcc, v14, v14
	v_cndmask_b32_e64 v9, v7, v15, s[0:1]
	v_cndmask_b32_e32 v14, v7, v16, vcc
	global_store_short v[10:11], v9, off
	global_store_short v[12:13], v14, off
	s_andn2_b64 exec, exec, s[24:25]
	s_cbranch_execnz .LBB10_2
.LBB10_3:
	s_or_b64 exec, exec, s[22:23]
	s_cmp_lg_u64 s[16:17], 0
	s_cbranch_scc0 .LBB10_7
; %bb.4:
	s_mul_i32 s8, s20, s15
	v_cmp_gt_i32_e32 vcc, s8, v0
	s_and_saveexec_b64 s[0:1], vcc
	s_cbranch_execz .LBB10_7
; %bb.5:
	s_mul_i32 s0, s6, s11
	s_mul_hi_u32 s1, s6, s10
	s_add_i32 s0, s1, s0
	s_mul_i32 s1, s7, s10
	s_add_i32 s1, s0, s1
	s_mul_i32 s0, s6, s10
	s_lshl_b64 s[0:1], s[0:1], 1
	s_add_u32 s9, s16, s0
	s_addc_u32 s0, s17, s1
	s_abs_i32 s10, s20
	v_cvt_f32_u32_e32 v1, s10
	s_load_dword s1, s[4:5], 0x64
	s_ashr_i32 s14, s20, 31
	s_sub_i32 s15, 0, s20
	v_rcp_iflag_f32_e32 v1, v1
	s_mov_b64 s[6:7], 0
	s_waitcnt lgkmcnt(0)
	s_and_b32 s11, s1, 0xffff
	s_sub_i32 s1, 0, s10
	v_mul_f32_e32 v1, 0x4f7ffffe, v1
	v_cvt_u32_f32_e32 v1, v1
	v_mov_b32_e32 v3, s27
	v_mov_b32_e32 v4, s28
	v_mov_b32_e32 v5, s19
	v_mul_lo_u32 v2, s1, v1
	v_mul_hi_u32 v2, v1, v2
	v_add_u32_e32 v1, v1, v2
	v_mov_b32_e32 v2, s0
	s_movk_i32 s16, 0x7fff
	v_mov_b32_e32 v6, 0x7fc00000
	v_mov_b32_e32 v7, 0x7fc0
.LBB10_6:                               ; =>This Inner Loop Header: Depth=1
	v_sub_u32_e32 v9, 0, v0
	v_max_i32_e32 v9, v0, v9
	v_mul_hi_u32 v10, v9, v1
	v_mul_lo_u32 v11, v10, s10
	v_sub_u32_e32 v9, v9, v11
	v_add_u32_e32 v12, 1, v10
	v_cmp_le_u32_e32 vcc, s10, v9
	v_subrev_u32_e32 v11, s10, v9
	v_cndmask_b32_e32 v10, v10, v12, vcc
	v_cndmask_b32_e32 v9, v9, v11, vcc
	v_ashrrev_i32_e32 v8, 31, v0
	v_add_u32_e32 v11, 1, v10
	v_cmp_le_u32_e32 vcc, s10, v9
	v_xor_b32_e32 v8, s14, v8
	v_cndmask_b32_e32 v9, v10, v11, vcc
	v_xor_b32_e32 v9, v9, v8
	v_sub_u32_e32 v10, v9, v8
	v_ashrrev_i32_e32 v12, 31, v10
	v_mul_lo_u32 v13, v10, s13
	v_mad_u64_u32 v[8:9], s[0:1], v10, s12, 0
	v_mad_u64_u32 v[10:11], s[0:1], s15, v10, v[0:1]
	v_ashrrev_i32_e32 v11, 31, v10
	v_mul_lo_u32 v12, v12, s12
	v_lshlrev_b64 v[10:11], 1, v[10:11]
	v_add3_u32 v9, v9, v13, v12
	v_add_co_u32_e32 v12, vcc, s26, v10
	v_addc_co_u32_e32 v13, vcc, v3, v11, vcc
	v_add_co_u32_e32 v14, vcc, s21, v10
	v_lshlrev_b64 v[8:9], 1, v[8:9]
	v_addc_co_u32_e32 v15, vcc, v4, v11, vcc
	v_add_co_u32_e32 v8, vcc, s9, v8
	v_addc_co_u32_e32 v9, vcc, v2, v9, vcc
	v_add_co_u32_e32 v8, vcc, v8, v10
	v_addc_co_u32_e32 v9, vcc, v9, v11, vcc
	global_load_ushort v16, v[14:15], off
	global_load_ushort v17, v[12:13], off
	v_add_co_u32_e32 v10, vcc, s18, v8
	v_addc_co_u32_e32 v11, vcc, v9, v5, vcc
	global_load_ushort v18, v[8:9], off
	global_load_ushort v19, v[10:11], off
	v_add_u32_e32 v0, s11, v0
	v_cmp_le_i32_e32 vcc, s8, v0
	s_or_b64 s[6:7], vcc, s[6:7]
	s_waitcnt vmcnt(3)
	v_lshlrev_b32_e32 v12, 16, v16
	s_waitcnt vmcnt(2)
	v_lshlrev_b32_e32 v13, 16, v17
	v_mov_b32_e32 v14, v13
	v_mov_b32_e32 v15, v12
	s_waitcnt vmcnt(1)
	v_lshlrev_b32_e32 v16, 16, v18
	s_waitcnt vmcnt(0)
	v_lshlrev_b32_e32 v17, 16, v19
	v_pk_mul_f32 v[14:15], v[14:15], v[16:17]
	v_pk_mul_f32 v[12:13], v[12:13], v[16:17]
	v_bfe_u32 v16, v14, 16, 1
	v_bfe_u32 v17, v15, 16, 1
	;; [unrolled: 1-line block ×4, first 2 shown]
	v_add3_u32 v17, v15, v17, s16
	v_add3_u32 v16, v14, v16, s16
	;; [unrolled: 1-line block ×4, first 2 shown]
	v_and_b32_e32 v16, 0xffff0000, v16
	v_and_b32_e32 v17, 0xffff0000, v17
	v_cmp_o_f32_e32 vcc, v14, v14
	v_cmp_o_f32_e64 s[4:5], v15, v15
	v_and_b32_e32 v14, 0xffff0000, v18
	v_and_b32_e32 v18, 0xffff0000, v19
	v_cmp_o_f32_e64 s[0:1], v13, v13
	v_cmp_o_f32_e64 s[2:3], v12, v12
	v_cndmask_b32_e64 v12, v6, v17, s[4:5]
	v_cndmask_b32_e32 v13, v6, v16, vcc
	v_cndmask_b32_e64 v15, v6, v18, s[0:1]
	v_cndmask_b32_e64 v14, v6, v14, s[2:3]
	v_sub_f32_e32 v12, v13, v12
	v_add_f32_e32 v13, v14, v15
	v_bfe_u32 v14, v12, 16, 1
	v_bfe_u32 v15, v13, 16, 1
	v_add3_u32 v14, v12, v14, s16
	v_add3_u32 v15, v13, v15, s16
	v_lshrrev_b32_e32 v14, 16, v14
	v_cmp_o_f32_e64 s[0:1], v12, v12
	v_lshrrev_b32_e32 v15, 16, v15
	v_cmp_o_f32_e32 vcc, v13, v13
	v_cndmask_b32_e64 v12, v7, v14, s[0:1]
	v_cndmask_b32_e32 v13, v7, v15, vcc
	global_store_short v[8:9], v12, off
	global_store_short v[10:11], v13, off
	s_andn2_b64 exec, exec, s[6:7]
	s_cbranch_execnz .LBB10_6
.LBB10_7:
	s_endpgm
	.section	.rodata,"a",@progbits
	.p2align	6, 0x0
	.amdhsa_kernel _ZN4vllm31batched_rotary_embedding_kernelIN3c108BFloat16ELb1EEEvPKlPT_S6_PKS5_S4_illliii
		.amdhsa_group_segment_fixed_size 0
		.amdhsa_private_segment_fixed_size 0
		.amdhsa_kernarg_size 344
		.amdhsa_user_sgpr_count 6
		.amdhsa_user_sgpr_private_segment_buffer 1
		.amdhsa_user_sgpr_dispatch_ptr 0
		.amdhsa_user_sgpr_queue_ptr 0
		.amdhsa_user_sgpr_kernarg_segment_ptr 1
		.amdhsa_user_sgpr_dispatch_id 0
		.amdhsa_user_sgpr_flat_scratch_init 0
		.amdhsa_user_sgpr_kernarg_preload_length 0
		.amdhsa_user_sgpr_kernarg_preload_offset 0
		.amdhsa_user_sgpr_private_segment_size 0
		.amdhsa_uses_dynamic_stack 0
		.amdhsa_system_sgpr_private_segment_wavefront_offset 0
		.amdhsa_system_sgpr_workgroup_id_x 1
		.amdhsa_system_sgpr_workgroup_id_y 0
		.amdhsa_system_sgpr_workgroup_id_z 0
		.amdhsa_system_sgpr_workgroup_info 0
		.amdhsa_system_vgpr_workitem_id 0
		.amdhsa_next_free_vgpr 21
		.amdhsa_next_free_sgpr 36
		.amdhsa_accum_offset 24
		.amdhsa_reserve_vcc 1
		.amdhsa_reserve_flat_scratch 0
		.amdhsa_float_round_mode_32 0
		.amdhsa_float_round_mode_16_64 0
		.amdhsa_float_denorm_mode_32 3
		.amdhsa_float_denorm_mode_16_64 3
		.amdhsa_dx10_clamp 1
		.amdhsa_ieee_mode 1
		.amdhsa_fp16_overflow 0
		.amdhsa_tg_split 0
		.amdhsa_exception_fp_ieee_invalid_op 0
		.amdhsa_exception_fp_denorm_src 0
		.amdhsa_exception_fp_ieee_div_zero 0
		.amdhsa_exception_fp_ieee_overflow 0
		.amdhsa_exception_fp_ieee_underflow 0
		.amdhsa_exception_fp_ieee_inexact 0
		.amdhsa_exception_int_div_zero 0
	.end_amdhsa_kernel
	.section	.text._ZN4vllm31batched_rotary_embedding_kernelIN3c108BFloat16ELb1EEEvPKlPT_S6_PKS5_S4_illliii,"axG",@progbits,_ZN4vllm31batched_rotary_embedding_kernelIN3c108BFloat16ELb1EEEvPKlPT_S6_PKS5_S4_illliii,comdat
.Lfunc_end10:
	.size	_ZN4vllm31batched_rotary_embedding_kernelIN3c108BFloat16ELb1EEEvPKlPT_S6_PKS5_S4_illliii, .Lfunc_end10-_ZN4vllm31batched_rotary_embedding_kernelIN3c108BFloat16ELb1EEEvPKlPT_S6_PKS5_S4_illliii
                                        ; -- End function
	.section	.AMDGPU.csdata,"",@progbits
; Kernel info:
; codeLenInByte = 1584
; NumSgprs: 40
; NumVgprs: 21
; NumAgprs: 0
; TotalNumVgprs: 21
; ScratchSize: 0
; MemoryBound: 0
; FloatMode: 240
; IeeeMode: 1
; LDSByteSize: 0 bytes/workgroup (compile time only)
; SGPRBlocks: 4
; VGPRBlocks: 2
; NumSGPRsForWavesPerEU: 40
; NumVGPRsForWavesPerEU: 21
; AccumOffset: 24
; Occupancy: 8
; WaveLimiterHint : 1
; COMPUTE_PGM_RSRC2:SCRATCH_EN: 0
; COMPUTE_PGM_RSRC2:USER_SGPR: 6
; COMPUTE_PGM_RSRC2:TRAP_HANDLER: 0
; COMPUTE_PGM_RSRC2:TGID_X_EN: 1
; COMPUTE_PGM_RSRC2:TGID_Y_EN: 0
; COMPUTE_PGM_RSRC2:TGID_Z_EN: 0
; COMPUTE_PGM_RSRC2:TIDIG_COMP_CNT: 0
; COMPUTE_PGM_RSRC3_GFX90A:ACCUM_OFFSET: 5
; COMPUTE_PGM_RSRC3_GFX90A:TG_SPLIT: 0
	.section	.text._ZN4vllm31batched_rotary_embedding_kernelIN3c108BFloat16ELb0EEEvPKlPT_S6_PKS5_S4_illliii,"axG",@progbits,_ZN4vllm31batched_rotary_embedding_kernelIN3c108BFloat16ELb0EEEvPKlPT_S6_PKS5_S4_illliii,comdat
	.protected	_ZN4vllm31batched_rotary_embedding_kernelIN3c108BFloat16ELb0EEEvPKlPT_S6_PKS5_S4_illliii ; -- Begin function _ZN4vllm31batched_rotary_embedding_kernelIN3c108BFloat16ELb0EEEvPKlPT_S6_PKS5_S4_illliii
	.globl	_ZN4vllm31batched_rotary_embedding_kernelIN3c108BFloat16ELb0EEEvPKlPT_S6_PKS5_S4_illliii
	.p2align	8
	.type	_ZN4vllm31batched_rotary_embedding_kernelIN3c108BFloat16ELb0EEEvPKlPT_S6_PKS5_S4_illliii,@function
_ZN4vllm31batched_rotary_embedding_kernelIN3c108BFloat16ELb0EEEvPKlPT_S6_PKS5_S4_illliii: ; @_ZN4vllm31batched_rotary_embedding_kernelIN3c108BFloat16ELb0EEEvPKlPT_S6_PKS5_S4_illliii
; %bb.0:
	s_load_dword s23, s[4:5], 0x28
	s_load_dwordx2 s[0:1], s[4:5], 0x20
	s_load_dwordx2 s[2:3], s[4:5], 0x0
	s_load_dwordx4 s[16:19], s[4:5], 0x10
	s_ashr_i32 s7, s6, 31
	s_waitcnt lgkmcnt(0)
	s_ashr_i32 s22, s23, 31
	s_lshl_b64 s[8:9], s[6:7], 3
	s_add_u32 s2, s2, s8
	s_addc_u32 s3, s3, s9
	s_add_u32 s0, s0, s8
	s_load_dwordx2 s[2:3], s[2:3], 0x0
	s_addc_u32 s1, s1, s9
	s_load_dwordx2 s[20:21], s[0:1], 0x0
	s_load_dwordx8 s[8:15], s[4:5], 0x30
	s_waitcnt lgkmcnt(0)
	s_add_u32 s0, s20, s2
	s_addc_u32 s1, s21, s3
	s_mul_i32 s2, s0, s22
	s_mul_hi_u32 s3, s0, s23
	s_add_i32 s2, s3, s2
	s_mul_i32 s1, s1, s23
	s_add_i32 s1, s2, s1
	s_mul_i32 s0, s0, s23
	s_lshl_b64 s[0:1], s[0:1], 1
	s_add_u32 s20, s18, s0
	s_addc_u32 s22, s19, s1
	s_lshr_b32 s0, s23, 31
	s_add_i32 s23, s23, s0
	s_ashr_i32 s2, s23, 1
	s_ashr_i32 s3, s2, 31
	s_lshl_b64 s[0:1], s[2:3], 1
	s_add_u32 s21, s20, s0
	s_mul_i32 s14, s2, s14
	s_addc_u32 s23, s22, s1
	v_cmp_gt_i32_e32 vcc, s14, v0
	s_and_saveexec_b64 s[18:19], vcc
	s_cbranch_execz .LBB11_3
; %bb.1:
	s_mul_i32 s0, s6, s9
	s_mul_hi_u32 s1, s6, s8
	s_add_i32 s9, s1, s0
	s_load_dwordx2 s[0:1], s[4:5], 0x8
	s_load_dword s26, s[4:5], 0x64
	s_mul_i32 s24, s7, s8
	s_add_i32 s9, s9, s24
	s_mul_i32 s8, s6, s8
	s_lshl_b64 s[8:9], s[8:9], 1
	s_waitcnt lgkmcnt(0)
	s_add_u32 s24, s0, s8
	s_addc_u32 s0, s1, s9
	s_abs_i32 s25, s2
	v_cvt_f32_u32_e32 v1, s25
	s_sub_i32 s8, 0, s25
	s_and_b32 s26, s26, 0xffff
	s_lshl_b32 s1, s2, 1
	v_rcp_iflag_f32_e32 v1, v1
	s_sub_i32 s27, 0, s1
	s_lshl_b32 s28, s26, 1
	s_sub_i32 s29, 0, s2
	v_mul_f32_e32 v1, 0x4f7ffffe, v1
	v_cvt_u32_f32_e32 v1, v1
	v_mov_b32_e32 v3, s0
	v_mov_b32_e32 v5, s22
	;; [unrolled: 1-line block ×3, first 2 shown]
	v_mul_lo_u32 v2, s8, v1
	v_mul_hi_u32 v2, v1, v2
	v_add_u32_e32 v1, v1, v2
	v_lshlrev_b32_e32 v2, 1, v0
	s_mov_b64 s[8:9], 0
	s_movk_i32 s30, 0x7fff
	v_mov_b32_e32 v7, 0x7fc00000
	v_mov_b32_e32 v8, 0x7fc0
	s_mov_b32 s31, 0x5040100
	v_mov_b32_e32 v4, v0
.LBB11_2:                               ; =>This Inner Loop Header: Depth=1
	v_sub_u32_e32 v10, 0, v4
	v_max_i32_e32 v10, v4, v10
	v_mul_hi_u32 v11, v10, v1
	v_mul_lo_u32 v12, v11, s25
	v_sub_u32_e32 v10, v10, v12
	v_add_u32_e32 v13, 1, v11
	v_cmp_le_u32_e32 vcc, s25, v10
	v_subrev_u32_e32 v12, s25, v10
	v_cndmask_b32_e32 v11, v11, v13, vcc
	v_cndmask_b32_e32 v10, v10, v12, vcc
	v_ashrrev_i32_e32 v9, 31, v4
	v_add_u32_e32 v12, 1, v11
	v_cmp_le_u32_e32 vcc, s25, v10
	v_xor_b32_e32 v9, s3, v9
	v_cndmask_b32_e32 v10, v11, v12, vcc
	v_xor_b32_e32 v10, v10, v9
	v_sub_u32_e32 v9, v10, v9
	v_mad_u64_u32 v[12:13], s[0:1], s29, v9, v[4:5]
	v_ashrrev_i32_e32 v13, 31, v12
	v_ashrrev_i32_e32 v16, 31, v9
	v_lshlrev_b64 v[12:13], 1, v[12:13]
	v_mul_lo_u32 v17, v9, s13
	v_mad_u64_u32 v[10:11], s[0:1], v9, s12, 0
	v_mad_u64_u32 v[14:15], s[0:1], s27, v9, v[2:3]
	v_mul_lo_u32 v9, v16, s12
	v_add_co_u32_e32 v16, vcc, s20, v12
	v_add3_u32 v11, v11, v17, v9
	v_addc_co_u32_e32 v17, vcc, v5, v13, vcc
	v_add_co_u32_e32 v12, vcc, s21, v12
	v_lshlrev_b64 v[10:11], 1, v[10:11]
	v_addc_co_u32_e32 v13, vcc, v6, v13, vcc
	v_ashrrev_i32_e32 v15, 31, v14
	v_add_co_u32_e32 v9, vcc, s24, v10
	v_lshlrev_b64 v[14:15], 1, v[14:15]
	v_addc_co_u32_e32 v11, vcc, v3, v11, vcc
	v_add_co_u32_e32 v10, vcc, v9, v14
	global_load_ushort v18, v[16:17], off
	global_load_ushort v19, v[12:13], off
	v_addc_co_u32_e32 v11, vcc, v11, v15, vcc
	global_load_dword v9, v[10:11], off
	v_add_u32_e32 v4, s26, v4
	v_cmp_le_i32_e32 vcc, s14, v4
	s_or_b64 s[8:9], vcc, s[8:9]
	v_add_u32_e32 v2, s28, v2
	s_waitcnt vmcnt(2)
	v_lshlrev_b32_e32 v13, 16, v18
	s_waitcnt vmcnt(1)
	v_lshlrev_b32_e32 v15, 16, v19
	v_mov_b32_e32 v12, v15
	v_mov_b32_e32 v16, v13
	s_waitcnt vmcnt(0)
	v_and_b32_e32 v18, 0xffff0000, v9
	v_lshlrev_b32_e32 v14, 16, v9
	v_pk_mul_f32 v[12:13], v[12:13], v[18:19] op_sel_hi:[1,0]
	v_mov_b32_e32 v17, v14
	v_bfe_u32 v9, v12, 16, 1
	v_bfe_u32 v18, v13, 16, 1
	v_pk_mul_f32 v[14:15], v[16:17], v[14:15]
	v_add3_u32 v16, v13, v18, s30
	v_add3_u32 v9, v12, v9, s30
	v_bfe_u32 v17, v14, 16, 1
	v_bfe_u32 v18, v15, 16, 1
	v_and_b32_e32 v9, 0xffff0000, v9
	v_and_b32_e32 v16, 0xffff0000, v16
	v_add3_u32 v18, v15, v18, s30
	v_add3_u32 v17, v14, v17, s30
	v_cmp_o_f32_e32 vcc, v12, v12
	v_cmp_o_f32_e64 s[0:1], v13, v13
	v_and_b32_e32 v17, 0xffff0000, v17
	v_and_b32_e32 v18, 0xffff0000, v18
	v_cndmask_b32_e64 v13, v7, v16, s[0:1]
	v_cndmask_b32_e32 v12, v7, v9, vcc
	v_cmp_o_f32_e32 vcc, v14, v14
	v_cmp_o_f32_e64 s[0:1], v15, v15
	v_cndmask_b32_e64 v15, v7, v18, s[0:1]
	v_cndmask_b32_e32 v14, v7, v17, vcc
	v_pk_add_f32 v[16:17], v[14:15], v[12:13] neg_lo:[0,1] neg_hi:[0,1]
	v_pk_add_f32 v[12:13], v[14:15], v[12:13]
	v_bfe_u32 v9, v16, 16, 1
	v_bfe_u32 v12, v13, 16, 1
	v_add3_u32 v12, v13, v12, s30
	v_add3_u32 v9, v16, v9, s30
	v_lshrrev_b32_e32 v9, 16, v9
	v_lshrrev_b32_e32 v12, 16, v12
	v_cmp_o_f32_e32 vcc, v13, v13
	v_cmp_o_f32_e64 s[0:1], v16, v16
	v_cndmask_b32_e64 v9, v8, v9, s[0:1]
	v_cndmask_b32_e32 v12, v8, v12, vcc
	v_perm_b32 v9, v12, v9, s31
	global_store_dword v[10:11], v9, off
	s_andn2_b64 exec, exec, s[8:9]
	s_cbranch_execnz .LBB11_2
.LBB11_3:
	s_or_b64 exec, exec, s[18:19]
	s_cmp_lg_u64 s[16:17], 0
	s_cbranch_scc0 .LBB11_7
; %bb.4:
	s_mul_i32 s8, s2, s15
	v_cmp_gt_i32_e32 vcc, s8, v0
	s_and_saveexec_b64 s[0:1], vcc
	s_cbranch_execz .LBB11_7
; %bb.5:
	s_mul_i32 s0, s6, s11
	s_mul_hi_u32 s1, s6, s10
	s_add_i32 s0, s1, s0
	s_mul_i32 s1, s7, s10
	s_add_i32 s1, s0, s1
	s_mul_i32 s0, s6, s10
	s_lshl_b64 s[0:1], s[0:1], 1
	s_add_u32 s6, s16, s0
	s_addc_u32 s0, s17, s1
	s_abs_i32 s7, s2
	v_cvt_f32_u32_e32 v1, s7
	s_load_dword s1, s[4:5], 0x64
	s_sub_i32 s4, 0, s7
	v_mov_b32_e32 v3, s0
	v_rcp_iflag_f32_e32 v1, v1
	v_mov_b32_e32 v4, s22
	s_waitcnt lgkmcnt(0)
	s_and_b32 s9, s1, 0xffff
	s_lshl_b32 s1, s2, 1
	v_mul_f32_e32 v1, 0x4f7ffffe, v1
	v_cvt_u32_f32_e32 v1, v1
	s_sub_i32 s10, 0, s1
	s_lshl_b32 s11, s9, 1
	s_sub_i32 s2, 0, s2
	v_mul_lo_u32 v2, s4, v1
	v_mul_hi_u32 v2, v1, v2
	v_add_u32_e32 v1, v1, v2
	v_lshlrev_b32_e32 v2, 1, v0
	s_mov_b64 s[4:5], 0
	v_mov_b32_e32 v5, s23
	s_movk_i32 s14, 0x7fff
	v_mov_b32_e32 v6, 0x7fc00000
	v_mov_b32_e32 v7, 0x7fc0
	s_mov_b32 s15, 0x5040100
.LBB11_6:                               ; =>This Inner Loop Header: Depth=1
	v_sub_u32_e32 v9, 0, v0
	v_max_i32_e32 v9, v0, v9
	v_mul_hi_u32 v10, v9, v1
	v_mul_lo_u32 v11, v10, s7
	v_sub_u32_e32 v9, v9, v11
	v_add_u32_e32 v12, 1, v10
	v_cmp_le_u32_e32 vcc, s7, v9
	v_subrev_u32_e32 v11, s7, v9
	v_cndmask_b32_e32 v10, v10, v12, vcc
	v_cndmask_b32_e32 v9, v9, v11, vcc
	v_ashrrev_i32_e32 v8, 31, v0
	v_add_u32_e32 v11, 1, v10
	v_cmp_le_u32_e32 vcc, s7, v9
	v_xor_b32_e32 v8, s3, v8
	v_cndmask_b32_e32 v9, v10, v11, vcc
	v_xor_b32_e32 v9, v9, v8
	v_sub_u32_e32 v12, v9, v8
	v_mad_u64_u32 v[10:11], s[0:1], s2, v12, v[0:1]
	v_ashrrev_i32_e32 v14, 31, v12
	v_ashrrev_i32_e32 v11, 31, v10
	v_mul_lo_u32 v15, v12, s13
	v_mad_u64_u32 v[8:9], s[0:1], v12, s12, 0
	v_mul_lo_u32 v14, v14, s12
	v_lshlrev_b64 v[10:11], 1, v[10:11]
	v_add3_u32 v9, v9, v15, v14
	v_add_co_u32_e32 v14, vcc, s20, v10
	v_addc_co_u32_e32 v15, vcc, v4, v11, vcc
	v_add_co_u32_e32 v10, vcc, s21, v10
	v_mad_u64_u32 v[12:13], s[0:1], s10, v12, v[2:3]
	v_lshlrev_b64 v[8:9], 1, v[8:9]
	v_addc_co_u32_e32 v11, vcc, v5, v11, vcc
	v_ashrrev_i32_e32 v13, 31, v12
	v_add_co_u32_e32 v8, vcc, s6, v8
	v_lshlrev_b64 v[12:13], 1, v[12:13]
	v_addc_co_u32_e32 v9, vcc, v3, v9, vcc
	v_add_co_u32_e32 v8, vcc, v8, v12
	global_load_ushort v16, v[14:15], off
	global_load_ushort v17, v[10:11], off
	v_addc_co_u32_e32 v9, vcc, v9, v13, vcc
	global_load_dword v12, v[8:9], off
	v_add_u32_e32 v0, s9, v0
	v_cmp_le_i32_e32 vcc, s8, v0
	s_or_b64 s[4:5], vcc, s[4:5]
	v_add_u32_e32 v2, s11, v2
	s_waitcnt vmcnt(2)
	v_lshlrev_b32_e32 v11, 16, v16
	s_waitcnt vmcnt(1)
	v_lshlrev_b32_e32 v13, 16, v17
	v_mov_b32_e32 v10, v13
	v_mov_b32_e32 v14, v11
	s_waitcnt vmcnt(0)
	v_and_b32_e32 v16, 0xffff0000, v12
	v_lshlrev_b32_e32 v12, 16, v12
	v_pk_mul_f32 v[10:11], v[10:11], v[16:17] op_sel_hi:[1,0]
	v_mov_b32_e32 v15, v12
	v_bfe_u32 v16, v10, 16, 1
	v_bfe_u32 v17, v11, 16, 1
	v_pk_mul_f32 v[12:13], v[14:15], v[12:13]
	v_add3_u32 v14, v11, v17, s14
	v_add3_u32 v15, v10, v16, s14
	v_bfe_u32 v16, v12, 16, 1
	v_bfe_u32 v17, v13, 16, 1
	v_and_b32_e32 v15, 0xffff0000, v15
	v_and_b32_e32 v14, 0xffff0000, v14
	v_add3_u32 v17, v13, v17, s14
	v_add3_u32 v16, v12, v16, s14
	v_cmp_o_f32_e32 vcc, v10, v10
	v_cmp_o_f32_e64 s[0:1], v11, v11
	v_and_b32_e32 v16, 0xffff0000, v16
	v_and_b32_e32 v17, 0xffff0000, v17
	v_cndmask_b32_e64 v11, v6, v14, s[0:1]
	v_cndmask_b32_e32 v10, v6, v15, vcc
	v_cmp_o_f32_e32 vcc, v12, v12
	v_cmp_o_f32_e64 s[0:1], v13, v13
	v_cndmask_b32_e64 v13, v6, v17, s[0:1]
	v_cndmask_b32_e32 v12, v6, v16, vcc
	v_pk_add_f32 v[14:15], v[12:13], v[10:11] neg_lo:[0,1] neg_hi:[0,1]
	v_pk_add_f32 v[10:11], v[12:13], v[10:11]
	v_bfe_u32 v10, v14, 16, 1
	v_bfe_u32 v12, v11, 16, 1
	v_add3_u32 v12, v11, v12, s14
	v_add3_u32 v10, v14, v10, s14
	v_lshrrev_b32_e32 v10, 16, v10
	v_lshrrev_b32_e32 v12, 16, v12
	v_cmp_o_f32_e32 vcc, v11, v11
	v_cmp_o_f32_e64 s[0:1], v14, v14
	v_cndmask_b32_e64 v10, v7, v10, s[0:1]
	v_cndmask_b32_e32 v11, v7, v12, vcc
	v_perm_b32 v10, v11, v10, s15
	global_store_dword v[8:9], v10, off
	s_andn2_b64 exec, exec, s[4:5]
	s_cbranch_execnz .LBB11_6
.LBB11_7:
	s_endpgm
	.section	.rodata,"a",@progbits
	.p2align	6, 0x0
	.amdhsa_kernel _ZN4vllm31batched_rotary_embedding_kernelIN3c108BFloat16ELb0EEEvPKlPT_S6_PKS5_S4_illliii
		.amdhsa_group_segment_fixed_size 0
		.amdhsa_private_segment_fixed_size 0
		.amdhsa_kernarg_size 344
		.amdhsa_user_sgpr_count 6
		.amdhsa_user_sgpr_private_segment_buffer 1
		.amdhsa_user_sgpr_dispatch_ptr 0
		.amdhsa_user_sgpr_queue_ptr 0
		.amdhsa_user_sgpr_kernarg_segment_ptr 1
		.amdhsa_user_sgpr_dispatch_id 0
		.amdhsa_user_sgpr_flat_scratch_init 0
		.amdhsa_user_sgpr_kernarg_preload_length 0
		.amdhsa_user_sgpr_kernarg_preload_offset 0
		.amdhsa_user_sgpr_private_segment_size 0
		.amdhsa_uses_dynamic_stack 0
		.amdhsa_system_sgpr_private_segment_wavefront_offset 0
		.amdhsa_system_sgpr_workgroup_id_x 1
		.amdhsa_system_sgpr_workgroup_id_y 0
		.amdhsa_system_sgpr_workgroup_id_z 0
		.amdhsa_system_sgpr_workgroup_info 0
		.amdhsa_system_vgpr_workitem_id 0
		.amdhsa_next_free_vgpr 20
		.amdhsa_next_free_sgpr 32
		.amdhsa_accum_offset 20
		.amdhsa_reserve_vcc 1
		.amdhsa_reserve_flat_scratch 0
		.amdhsa_float_round_mode_32 0
		.amdhsa_float_round_mode_16_64 0
		.amdhsa_float_denorm_mode_32 3
		.amdhsa_float_denorm_mode_16_64 3
		.amdhsa_dx10_clamp 1
		.amdhsa_ieee_mode 1
		.amdhsa_fp16_overflow 0
		.amdhsa_tg_split 0
		.amdhsa_exception_fp_ieee_invalid_op 0
		.amdhsa_exception_fp_denorm_src 0
		.amdhsa_exception_fp_ieee_div_zero 0
		.amdhsa_exception_fp_ieee_overflow 0
		.amdhsa_exception_fp_ieee_underflow 0
		.amdhsa_exception_fp_ieee_inexact 0
		.amdhsa_exception_int_div_zero 0
	.end_amdhsa_kernel
	.section	.text._ZN4vllm31batched_rotary_embedding_kernelIN3c108BFloat16ELb0EEEvPKlPT_S6_PKS5_S4_illliii,"axG",@progbits,_ZN4vllm31batched_rotary_embedding_kernelIN3c108BFloat16ELb0EEEvPKlPT_S6_PKS5_S4_illliii,comdat
.Lfunc_end11:
	.size	_ZN4vllm31batched_rotary_embedding_kernelIN3c108BFloat16ELb0EEEvPKlPT_S6_PKS5_S4_illliii, .Lfunc_end11-_ZN4vllm31batched_rotary_embedding_kernelIN3c108BFloat16ELb0EEEvPKlPT_S6_PKS5_S4_illliii
                                        ; -- End function
	.section	.AMDGPU.csdata,"",@progbits
; Kernel info:
; codeLenInByte = 1640
; NumSgprs: 36
; NumVgprs: 20
; NumAgprs: 0
; TotalNumVgprs: 20
; ScratchSize: 0
; MemoryBound: 0
; FloatMode: 240
; IeeeMode: 1
; LDSByteSize: 0 bytes/workgroup (compile time only)
; SGPRBlocks: 4
; VGPRBlocks: 2
; NumSGPRsForWavesPerEU: 36
; NumVGPRsForWavesPerEU: 20
; AccumOffset: 20
; Occupancy: 8
; WaveLimiterHint : 1
; COMPUTE_PGM_RSRC2:SCRATCH_EN: 0
; COMPUTE_PGM_RSRC2:USER_SGPR: 6
; COMPUTE_PGM_RSRC2:TRAP_HANDLER: 0
; COMPUTE_PGM_RSRC2:TGID_X_EN: 1
; COMPUTE_PGM_RSRC2:TGID_Y_EN: 0
; COMPUTE_PGM_RSRC2:TGID_Z_EN: 0
; COMPUTE_PGM_RSRC2:TIDIG_COMP_CNT: 0
; COMPUTE_PGM_RSRC3_GFX90A:ACCUM_OFFSET: 4
; COMPUTE_PGM_RSRC3_GFX90A:TG_SPLIT: 0
	.text
	.p2alignl 6, 3212836864
	.fill 256, 4, 3212836864
	.type	__hip_cuid_d56db95457305e15,@object ; @__hip_cuid_d56db95457305e15
	.section	.bss,"aw",@nobits
	.globl	__hip_cuid_d56db95457305e15
__hip_cuid_d56db95457305e15:
	.byte	0                               ; 0x0
	.size	__hip_cuid_d56db95457305e15, 1

	.ident	"AMD clang version 19.0.0git (https://github.com/RadeonOpenCompute/llvm-project roc-6.4.0 25133 c7fe45cf4b819c5991fe208aaa96edf142730f1d)"
	.section	".note.GNU-stack","",@progbits
	.addrsig
	.addrsig_sym __hip_cuid_d56db95457305e15
	.amdgpu_metadata
---
amdhsa.kernels:
  - .agpr_count:     0
    .args:
      - .actual_access:  read_only
        .address_space:  global
        .offset:         0
        .size:           8
        .value_kind:     global_buffer
      - .address_space:  global
        .offset:         8
        .size:           8
        .value_kind:     global_buffer
      - .address_space:  global
        .offset:         16
        .size:           8
        .value_kind:     global_buffer
      - .actual_access:  read_only
        .address_space:  global
        .offset:         24
        .size:           8
        .value_kind:     global_buffer
      - .offset:         32
        .size:           4
        .value_kind:     by_value
      - .offset:         40
        .size:           8
        .value_kind:     by_value
      - .offset:         48
        .size:           8
        .value_kind:     by_value
      - .offset:         56
        .size:           8
        .value_kind:     by_value
      - .offset:         64
        .size:           4
        .value_kind:     by_value
      - .offset:         68
        .size:           4
        .value_kind:     by_value
      - .offset:         72
        .size:           4
        .value_kind:     by_value
      - .offset:         80
        .size:           4
        .value_kind:     hidden_block_count_x
      - .offset:         84
        .size:           4
        .value_kind:     hidden_block_count_y
      - .offset:         88
        .size:           4
        .value_kind:     hidden_block_count_z
      - .offset:         92
        .size:           2
        .value_kind:     hidden_group_size_x
      - .offset:         94
        .size:           2
        .value_kind:     hidden_group_size_y
      - .offset:         96
        .size:           2
        .value_kind:     hidden_group_size_z
      - .offset:         98
        .size:           2
        .value_kind:     hidden_remainder_x
      - .offset:         100
        .size:           2
        .value_kind:     hidden_remainder_y
      - .offset:         102
        .size:           2
        .value_kind:     hidden_remainder_z
      - .offset:         120
        .size:           8
        .value_kind:     hidden_global_offset_x
      - .offset:         128
        .size:           8
        .value_kind:     hidden_global_offset_y
      - .offset:         136
        .size:           8
        .value_kind:     hidden_global_offset_z
      - .offset:         144
        .size:           2
        .value_kind:     hidden_grid_dims
    .group_segment_fixed_size: 0
    .kernarg_segment_align: 8
    .kernarg_segment_size: 336
    .language:       OpenCL C
    .language_version:
      - 2
      - 0
    .max_flat_workgroup_size: 1024
    .name:           _ZN4vllm23rotary_embedding_kernelIfLb1EEEvPKlPT_S4_PKS3_illliii
    .private_segment_fixed_size: 0
    .sgpr_count:     34
    .sgpr_spill_count: 0
    .symbol:         _ZN4vllm23rotary_embedding_kernelIfLb1EEEvPKlPT_S4_PKS3_illliii.kd
    .uniform_work_group_size: 1
    .uses_dynamic_stack: false
    .vgpr_count:     18
    .vgpr_spill_count: 0
    .wavefront_size: 64
  - .agpr_count:     0
    .args:
      - .actual_access:  read_only
        .address_space:  global
        .offset:         0
        .size:           8
        .value_kind:     global_buffer
      - .address_space:  global
        .offset:         8
        .size:           8
        .value_kind:     global_buffer
      - .address_space:  global
        .offset:         16
        .size:           8
        .value_kind:     global_buffer
      - .actual_access:  read_only
        .address_space:  global
        .offset:         24
        .size:           8
        .value_kind:     global_buffer
      - .offset:         32
        .size:           4
        .value_kind:     by_value
      - .offset:         40
        .size:           8
        .value_kind:     by_value
      - .offset:         48
        .size:           8
        .value_kind:     by_value
      - .offset:         56
        .size:           8
        .value_kind:     by_value
      - .offset:         64
        .size:           4
        .value_kind:     by_value
      - .offset:         68
        .size:           4
        .value_kind:     by_value
      - .offset:         72
        .size:           4
        .value_kind:     by_value
      - .offset:         80
        .size:           4
        .value_kind:     hidden_block_count_x
      - .offset:         84
        .size:           4
        .value_kind:     hidden_block_count_y
      - .offset:         88
        .size:           4
        .value_kind:     hidden_block_count_z
      - .offset:         92
        .size:           2
        .value_kind:     hidden_group_size_x
      - .offset:         94
        .size:           2
        .value_kind:     hidden_group_size_y
      - .offset:         96
        .size:           2
        .value_kind:     hidden_group_size_z
      - .offset:         98
        .size:           2
        .value_kind:     hidden_remainder_x
      - .offset:         100
        .size:           2
        .value_kind:     hidden_remainder_y
      - .offset:         102
        .size:           2
        .value_kind:     hidden_remainder_z
      - .offset:         120
        .size:           8
        .value_kind:     hidden_global_offset_x
      - .offset:         128
        .size:           8
        .value_kind:     hidden_global_offset_y
      - .offset:         136
        .size:           8
        .value_kind:     hidden_global_offset_z
      - .offset:         144
        .size:           2
        .value_kind:     hidden_grid_dims
    .group_segment_fixed_size: 0
    .kernarg_segment_align: 8
    .kernarg_segment_size: 336
    .language:       OpenCL C
    .language_version:
      - 2
      - 0
    .max_flat_workgroup_size: 1024
    .name:           _ZN4vllm23rotary_embedding_kernelIfLb0EEEvPKlPT_S4_PKS3_illliii
    .private_segment_fixed_size: 0
    .sgpr_count:     34
    .sgpr_spill_count: 0
    .symbol:         _ZN4vllm23rotary_embedding_kernelIfLb0EEEvPKlPT_S4_PKS3_illliii.kd
    .uniform_work_group_size: 1
    .uses_dynamic_stack: false
    .vgpr_count:     18
    .vgpr_spill_count: 0
    .wavefront_size: 64
  - .agpr_count:     0
    .args:
      - .actual_access:  read_only
        .address_space:  global
        .offset:         0
        .size:           8
        .value_kind:     global_buffer
      - .address_space:  global
        .offset:         8
        .size:           8
        .value_kind:     global_buffer
      - .address_space:  global
        .offset:         16
        .size:           8
        .value_kind:     global_buffer
      - .actual_access:  read_only
        .address_space:  global
        .offset:         24
        .size:           8
        .value_kind:     global_buffer
      - .offset:         32
        .size:           4
        .value_kind:     by_value
      - .offset:         40
        .size:           8
        .value_kind:     by_value
      - .offset:         48
        .size:           8
        .value_kind:     by_value
      - .offset:         56
        .size:           8
        .value_kind:     by_value
      - .offset:         64
        .size:           4
        .value_kind:     by_value
      - .offset:         68
        .size:           4
        .value_kind:     by_value
      - .offset:         72
        .size:           4
        .value_kind:     by_value
      - .offset:         80
        .size:           4
        .value_kind:     hidden_block_count_x
      - .offset:         84
        .size:           4
        .value_kind:     hidden_block_count_y
      - .offset:         88
        .size:           4
        .value_kind:     hidden_block_count_z
      - .offset:         92
        .size:           2
        .value_kind:     hidden_group_size_x
      - .offset:         94
        .size:           2
        .value_kind:     hidden_group_size_y
      - .offset:         96
        .size:           2
        .value_kind:     hidden_group_size_z
      - .offset:         98
        .size:           2
        .value_kind:     hidden_remainder_x
      - .offset:         100
        .size:           2
        .value_kind:     hidden_remainder_y
      - .offset:         102
        .size:           2
        .value_kind:     hidden_remainder_z
      - .offset:         120
        .size:           8
        .value_kind:     hidden_global_offset_x
      - .offset:         128
        .size:           8
        .value_kind:     hidden_global_offset_y
      - .offset:         136
        .size:           8
        .value_kind:     hidden_global_offset_z
      - .offset:         144
        .size:           2
        .value_kind:     hidden_grid_dims
    .group_segment_fixed_size: 0
    .kernarg_segment_align: 8
    .kernarg_segment_size: 336
    .language:       OpenCL C
    .language_version:
      - 2
      - 0
    .max_flat_workgroup_size: 1024
    .name:           _ZN4vllm23rotary_embedding_kernelIN3c104HalfELb1EEEvPKlPT_S6_PKS5_illliii
    .private_segment_fixed_size: 0
    .sgpr_count:     34
    .sgpr_spill_count: 0
    .symbol:         _ZN4vllm23rotary_embedding_kernelIN3c104HalfELb1EEEvPKlPT_S6_PKS5_illliii.kd
    .uniform_work_group_size: 1
    .uses_dynamic_stack: false
    .vgpr_count:     18
    .vgpr_spill_count: 0
    .wavefront_size: 64
  - .agpr_count:     0
    .args:
      - .actual_access:  read_only
        .address_space:  global
        .offset:         0
        .size:           8
        .value_kind:     global_buffer
      - .address_space:  global
        .offset:         8
        .size:           8
        .value_kind:     global_buffer
      - .address_space:  global
        .offset:         16
        .size:           8
        .value_kind:     global_buffer
      - .actual_access:  read_only
        .address_space:  global
        .offset:         24
        .size:           8
        .value_kind:     global_buffer
      - .offset:         32
        .size:           4
        .value_kind:     by_value
      - .offset:         40
        .size:           8
        .value_kind:     by_value
      - .offset:         48
        .size:           8
        .value_kind:     by_value
      - .offset:         56
        .size:           8
        .value_kind:     by_value
      - .offset:         64
        .size:           4
        .value_kind:     by_value
      - .offset:         68
        .size:           4
        .value_kind:     by_value
      - .offset:         72
        .size:           4
        .value_kind:     by_value
      - .offset:         80
        .size:           4
        .value_kind:     hidden_block_count_x
      - .offset:         84
        .size:           4
        .value_kind:     hidden_block_count_y
      - .offset:         88
        .size:           4
        .value_kind:     hidden_block_count_z
      - .offset:         92
        .size:           2
        .value_kind:     hidden_group_size_x
      - .offset:         94
        .size:           2
        .value_kind:     hidden_group_size_y
      - .offset:         96
        .size:           2
        .value_kind:     hidden_group_size_z
      - .offset:         98
        .size:           2
        .value_kind:     hidden_remainder_x
      - .offset:         100
        .size:           2
        .value_kind:     hidden_remainder_y
      - .offset:         102
        .size:           2
        .value_kind:     hidden_remainder_z
      - .offset:         120
        .size:           8
        .value_kind:     hidden_global_offset_x
      - .offset:         128
        .size:           8
        .value_kind:     hidden_global_offset_y
      - .offset:         136
        .size:           8
        .value_kind:     hidden_global_offset_z
      - .offset:         144
        .size:           2
        .value_kind:     hidden_grid_dims
    .group_segment_fixed_size: 0
    .kernarg_segment_align: 8
    .kernarg_segment_size: 336
    .language:       OpenCL C
    .language_version:
      - 2
      - 0
    .max_flat_workgroup_size: 1024
    .name:           _ZN4vllm23rotary_embedding_kernelIN3c104HalfELb0EEEvPKlPT_S6_PKS5_illliii
    .private_segment_fixed_size: 0
    .sgpr_count:     34
    .sgpr_spill_count: 0
    .symbol:         _ZN4vllm23rotary_embedding_kernelIN3c104HalfELb0EEEvPKlPT_S6_PKS5_illliii.kd
    .uniform_work_group_size: 1
    .uses_dynamic_stack: false
    .vgpr_count:     18
    .vgpr_spill_count: 0
    .wavefront_size: 64
  - .agpr_count:     0
    .args:
      - .actual_access:  read_only
        .address_space:  global
        .offset:         0
        .size:           8
        .value_kind:     global_buffer
      - .address_space:  global
        .offset:         8
        .size:           8
        .value_kind:     global_buffer
      - .address_space:  global
        .offset:         16
        .size:           8
        .value_kind:     global_buffer
      - .actual_access:  read_only
        .address_space:  global
        .offset:         24
        .size:           8
        .value_kind:     global_buffer
      - .offset:         32
        .size:           4
        .value_kind:     by_value
      - .offset:         40
        .size:           8
        .value_kind:     by_value
      - .offset:         48
        .size:           8
        .value_kind:     by_value
      - .offset:         56
        .size:           8
        .value_kind:     by_value
      - .offset:         64
        .size:           4
        .value_kind:     by_value
      - .offset:         68
        .size:           4
        .value_kind:     by_value
      - .offset:         72
        .size:           4
        .value_kind:     by_value
      - .offset:         80
        .size:           4
        .value_kind:     hidden_block_count_x
      - .offset:         84
        .size:           4
        .value_kind:     hidden_block_count_y
      - .offset:         88
        .size:           4
        .value_kind:     hidden_block_count_z
      - .offset:         92
        .size:           2
        .value_kind:     hidden_group_size_x
      - .offset:         94
        .size:           2
        .value_kind:     hidden_group_size_y
      - .offset:         96
        .size:           2
        .value_kind:     hidden_group_size_z
      - .offset:         98
        .size:           2
        .value_kind:     hidden_remainder_x
      - .offset:         100
        .size:           2
        .value_kind:     hidden_remainder_y
      - .offset:         102
        .size:           2
        .value_kind:     hidden_remainder_z
      - .offset:         120
        .size:           8
        .value_kind:     hidden_global_offset_x
      - .offset:         128
        .size:           8
        .value_kind:     hidden_global_offset_y
      - .offset:         136
        .size:           8
        .value_kind:     hidden_global_offset_z
      - .offset:         144
        .size:           2
        .value_kind:     hidden_grid_dims
    .group_segment_fixed_size: 0
    .kernarg_segment_align: 8
    .kernarg_segment_size: 336
    .language:       OpenCL C
    .language_version:
      - 2
      - 0
    .max_flat_workgroup_size: 1024
    .name:           _ZN4vllm23rotary_embedding_kernelIN3c108BFloat16ELb1EEEvPKlPT_S6_PKS5_illliii
    .private_segment_fixed_size: 0
    .sgpr_count:     40
    .sgpr_spill_count: 0
    .symbol:         _ZN4vllm23rotary_embedding_kernelIN3c108BFloat16ELb1EEEvPKlPT_S6_PKS5_illliii.kd
    .uniform_work_group_size: 1
    .uses_dynamic_stack: false
    .vgpr_count:     21
    .vgpr_spill_count: 0
    .wavefront_size: 64
  - .agpr_count:     0
    .args:
      - .actual_access:  read_only
        .address_space:  global
        .offset:         0
        .size:           8
        .value_kind:     global_buffer
      - .address_space:  global
        .offset:         8
        .size:           8
        .value_kind:     global_buffer
      - .address_space:  global
        .offset:         16
        .size:           8
        .value_kind:     global_buffer
      - .actual_access:  read_only
        .address_space:  global
        .offset:         24
        .size:           8
        .value_kind:     global_buffer
      - .offset:         32
        .size:           4
        .value_kind:     by_value
      - .offset:         40
        .size:           8
        .value_kind:     by_value
      - .offset:         48
        .size:           8
        .value_kind:     by_value
      - .offset:         56
        .size:           8
        .value_kind:     by_value
      - .offset:         64
        .size:           4
        .value_kind:     by_value
      - .offset:         68
        .size:           4
        .value_kind:     by_value
      - .offset:         72
        .size:           4
        .value_kind:     by_value
      - .offset:         80
        .size:           4
        .value_kind:     hidden_block_count_x
      - .offset:         84
        .size:           4
        .value_kind:     hidden_block_count_y
      - .offset:         88
        .size:           4
        .value_kind:     hidden_block_count_z
      - .offset:         92
        .size:           2
        .value_kind:     hidden_group_size_x
      - .offset:         94
        .size:           2
        .value_kind:     hidden_group_size_y
      - .offset:         96
        .size:           2
        .value_kind:     hidden_group_size_z
      - .offset:         98
        .size:           2
        .value_kind:     hidden_remainder_x
      - .offset:         100
        .size:           2
        .value_kind:     hidden_remainder_y
      - .offset:         102
        .size:           2
        .value_kind:     hidden_remainder_z
      - .offset:         120
        .size:           8
        .value_kind:     hidden_global_offset_x
      - .offset:         128
        .size:           8
        .value_kind:     hidden_global_offset_y
      - .offset:         136
        .size:           8
        .value_kind:     hidden_global_offset_z
      - .offset:         144
        .size:           2
        .value_kind:     hidden_grid_dims
    .group_segment_fixed_size: 0
    .kernarg_segment_align: 8
    .kernarg_segment_size: 336
    .language:       OpenCL C
    .language_version:
      - 2
      - 0
    .max_flat_workgroup_size: 1024
    .name:           _ZN4vllm23rotary_embedding_kernelIN3c108BFloat16ELb0EEEvPKlPT_S6_PKS5_illliii
    .private_segment_fixed_size: 0
    .sgpr_count:     36
    .sgpr_spill_count: 0
    .symbol:         _ZN4vllm23rotary_embedding_kernelIN3c108BFloat16ELb0EEEvPKlPT_S6_PKS5_illliii.kd
    .uniform_work_group_size: 1
    .uses_dynamic_stack: false
    .vgpr_count:     20
    .vgpr_spill_count: 0
    .wavefront_size: 64
  - .agpr_count:     0
    .args:
      - .actual_access:  read_only
        .address_space:  global
        .offset:         0
        .size:           8
        .value_kind:     global_buffer
      - .address_space:  global
        .offset:         8
        .size:           8
        .value_kind:     global_buffer
      - .address_space:  global
        .offset:         16
        .size:           8
        .value_kind:     global_buffer
      - .actual_access:  read_only
        .address_space:  global
        .offset:         24
        .size:           8
        .value_kind:     global_buffer
      - .actual_access:  read_only
        .address_space:  global
        .offset:         32
        .size:           8
        .value_kind:     global_buffer
      - .offset:         40
        .size:           4
        .value_kind:     by_value
      - .offset:         48
        .size:           8
        .value_kind:     by_value
      - .offset:         56
        .size:           8
        .value_kind:     by_value
      - .offset:         64
        .size:           8
        .value_kind:     by_value
      - .offset:         72
        .size:           4
        .value_kind:     by_value
      - .offset:         76
        .size:           4
        .value_kind:     by_value
      - .offset:         80
        .size:           4
        .value_kind:     by_value
      - .offset:         88
        .size:           4
        .value_kind:     hidden_block_count_x
      - .offset:         92
        .size:           4
        .value_kind:     hidden_block_count_y
      - .offset:         96
        .size:           4
        .value_kind:     hidden_block_count_z
      - .offset:         100
        .size:           2
        .value_kind:     hidden_group_size_x
      - .offset:         102
        .size:           2
        .value_kind:     hidden_group_size_y
      - .offset:         104
        .size:           2
        .value_kind:     hidden_group_size_z
      - .offset:         106
        .size:           2
        .value_kind:     hidden_remainder_x
      - .offset:         108
        .size:           2
        .value_kind:     hidden_remainder_y
      - .offset:         110
        .size:           2
        .value_kind:     hidden_remainder_z
      - .offset:         128
        .size:           8
        .value_kind:     hidden_global_offset_x
      - .offset:         136
        .size:           8
        .value_kind:     hidden_global_offset_y
      - .offset:         144
        .size:           8
        .value_kind:     hidden_global_offset_z
      - .offset:         152
        .size:           2
        .value_kind:     hidden_grid_dims
    .group_segment_fixed_size: 0
    .kernarg_segment_align: 8
    .kernarg_segment_size: 344
    .language:       OpenCL C
    .language_version:
      - 2
      - 0
    .max_flat_workgroup_size: 1024
    .name:           _ZN4vllm31batched_rotary_embedding_kernelIfLb1EEEvPKlPT_S4_PKS3_S2_illliii
    .private_segment_fixed_size: 0
    .sgpr_count:     34
    .sgpr_spill_count: 0
    .symbol:         _ZN4vllm31batched_rotary_embedding_kernelIfLb1EEEvPKlPT_S4_PKS3_S2_illliii.kd
    .uniform_work_group_size: 1
    .uses_dynamic_stack: false
    .vgpr_count:     18
    .vgpr_spill_count: 0
    .wavefront_size: 64
  - .agpr_count:     0
    .args:
      - .actual_access:  read_only
        .address_space:  global
        .offset:         0
        .size:           8
        .value_kind:     global_buffer
      - .address_space:  global
        .offset:         8
        .size:           8
        .value_kind:     global_buffer
      - .address_space:  global
        .offset:         16
        .size:           8
        .value_kind:     global_buffer
      - .actual_access:  read_only
        .address_space:  global
        .offset:         24
        .size:           8
        .value_kind:     global_buffer
      - .actual_access:  read_only
        .address_space:  global
        .offset:         32
        .size:           8
        .value_kind:     global_buffer
      - .offset:         40
        .size:           4
        .value_kind:     by_value
      - .offset:         48
        .size:           8
        .value_kind:     by_value
      - .offset:         56
        .size:           8
        .value_kind:     by_value
      - .offset:         64
        .size:           8
        .value_kind:     by_value
      - .offset:         72
        .size:           4
        .value_kind:     by_value
      - .offset:         76
        .size:           4
        .value_kind:     by_value
      - .offset:         80
        .size:           4
        .value_kind:     by_value
      - .offset:         88
        .size:           4
        .value_kind:     hidden_block_count_x
      - .offset:         92
        .size:           4
        .value_kind:     hidden_block_count_y
      - .offset:         96
        .size:           4
        .value_kind:     hidden_block_count_z
      - .offset:         100
        .size:           2
        .value_kind:     hidden_group_size_x
      - .offset:         102
        .size:           2
        .value_kind:     hidden_group_size_y
      - .offset:         104
        .size:           2
        .value_kind:     hidden_group_size_z
      - .offset:         106
        .size:           2
        .value_kind:     hidden_remainder_x
      - .offset:         108
        .size:           2
        .value_kind:     hidden_remainder_y
      - .offset:         110
        .size:           2
        .value_kind:     hidden_remainder_z
      - .offset:         128
        .size:           8
        .value_kind:     hidden_global_offset_x
      - .offset:         136
        .size:           8
        .value_kind:     hidden_global_offset_y
      - .offset:         144
        .size:           8
        .value_kind:     hidden_global_offset_z
      - .offset:         152
        .size:           2
        .value_kind:     hidden_grid_dims
    .group_segment_fixed_size: 0
    .kernarg_segment_align: 8
    .kernarg_segment_size: 344
    .language:       OpenCL C
    .language_version:
      - 2
      - 0
    .max_flat_workgroup_size: 1024
    .name:           _ZN4vllm31batched_rotary_embedding_kernelIfLb0EEEvPKlPT_S4_PKS3_S2_illliii
    .private_segment_fixed_size: 0
    .sgpr_count:     34
    .sgpr_spill_count: 0
    .symbol:         _ZN4vllm31batched_rotary_embedding_kernelIfLb0EEEvPKlPT_S4_PKS3_S2_illliii.kd
    .uniform_work_group_size: 1
    .uses_dynamic_stack: false
    .vgpr_count:     18
    .vgpr_spill_count: 0
    .wavefront_size: 64
  - .agpr_count:     0
    .args:
      - .actual_access:  read_only
        .address_space:  global
        .offset:         0
        .size:           8
        .value_kind:     global_buffer
      - .address_space:  global
        .offset:         8
        .size:           8
        .value_kind:     global_buffer
      - .address_space:  global
        .offset:         16
        .size:           8
        .value_kind:     global_buffer
      - .actual_access:  read_only
        .address_space:  global
        .offset:         24
        .size:           8
        .value_kind:     global_buffer
      - .actual_access:  read_only
        .address_space:  global
        .offset:         32
        .size:           8
        .value_kind:     global_buffer
      - .offset:         40
        .size:           4
        .value_kind:     by_value
      - .offset:         48
        .size:           8
        .value_kind:     by_value
      - .offset:         56
        .size:           8
        .value_kind:     by_value
      - .offset:         64
        .size:           8
        .value_kind:     by_value
      - .offset:         72
        .size:           4
        .value_kind:     by_value
      - .offset:         76
        .size:           4
        .value_kind:     by_value
      - .offset:         80
        .size:           4
        .value_kind:     by_value
      - .offset:         88
        .size:           4
        .value_kind:     hidden_block_count_x
      - .offset:         92
        .size:           4
        .value_kind:     hidden_block_count_y
      - .offset:         96
        .size:           4
        .value_kind:     hidden_block_count_z
      - .offset:         100
        .size:           2
        .value_kind:     hidden_group_size_x
      - .offset:         102
        .size:           2
        .value_kind:     hidden_group_size_y
      - .offset:         104
        .size:           2
        .value_kind:     hidden_group_size_z
      - .offset:         106
        .size:           2
        .value_kind:     hidden_remainder_x
      - .offset:         108
        .size:           2
        .value_kind:     hidden_remainder_y
      - .offset:         110
        .size:           2
        .value_kind:     hidden_remainder_z
      - .offset:         128
        .size:           8
        .value_kind:     hidden_global_offset_x
      - .offset:         136
        .size:           8
        .value_kind:     hidden_global_offset_y
      - .offset:         144
        .size:           8
        .value_kind:     hidden_global_offset_z
      - .offset:         152
        .size:           2
        .value_kind:     hidden_grid_dims
    .group_segment_fixed_size: 0
    .kernarg_segment_align: 8
    .kernarg_segment_size: 344
    .language:       OpenCL C
    .language_version:
      - 2
      - 0
    .max_flat_workgroup_size: 1024
    .name:           _ZN4vllm31batched_rotary_embedding_kernelIN3c104HalfELb1EEEvPKlPT_S6_PKS5_S4_illliii
    .private_segment_fixed_size: 0
    .sgpr_count:     34
    .sgpr_spill_count: 0
    .symbol:         _ZN4vllm31batched_rotary_embedding_kernelIN3c104HalfELb1EEEvPKlPT_S6_PKS5_S4_illliii.kd
    .uniform_work_group_size: 1
    .uses_dynamic_stack: false
    .vgpr_count:     18
    .vgpr_spill_count: 0
    .wavefront_size: 64
  - .agpr_count:     0
    .args:
      - .actual_access:  read_only
        .address_space:  global
        .offset:         0
        .size:           8
        .value_kind:     global_buffer
      - .address_space:  global
        .offset:         8
        .size:           8
        .value_kind:     global_buffer
      - .address_space:  global
        .offset:         16
        .size:           8
        .value_kind:     global_buffer
      - .actual_access:  read_only
        .address_space:  global
        .offset:         24
        .size:           8
        .value_kind:     global_buffer
      - .actual_access:  read_only
        .address_space:  global
        .offset:         32
        .size:           8
        .value_kind:     global_buffer
      - .offset:         40
        .size:           4
        .value_kind:     by_value
      - .offset:         48
        .size:           8
        .value_kind:     by_value
      - .offset:         56
        .size:           8
        .value_kind:     by_value
      - .offset:         64
        .size:           8
        .value_kind:     by_value
      - .offset:         72
        .size:           4
        .value_kind:     by_value
      - .offset:         76
        .size:           4
        .value_kind:     by_value
      - .offset:         80
        .size:           4
        .value_kind:     by_value
      - .offset:         88
        .size:           4
        .value_kind:     hidden_block_count_x
      - .offset:         92
        .size:           4
        .value_kind:     hidden_block_count_y
      - .offset:         96
        .size:           4
        .value_kind:     hidden_block_count_z
      - .offset:         100
        .size:           2
        .value_kind:     hidden_group_size_x
      - .offset:         102
        .size:           2
        .value_kind:     hidden_group_size_y
      - .offset:         104
        .size:           2
        .value_kind:     hidden_group_size_z
      - .offset:         106
        .size:           2
        .value_kind:     hidden_remainder_x
      - .offset:         108
        .size:           2
        .value_kind:     hidden_remainder_y
      - .offset:         110
        .size:           2
        .value_kind:     hidden_remainder_z
      - .offset:         128
        .size:           8
        .value_kind:     hidden_global_offset_x
      - .offset:         136
        .size:           8
        .value_kind:     hidden_global_offset_y
      - .offset:         144
        .size:           8
        .value_kind:     hidden_global_offset_z
      - .offset:         152
        .size:           2
        .value_kind:     hidden_grid_dims
    .group_segment_fixed_size: 0
    .kernarg_segment_align: 8
    .kernarg_segment_size: 344
    .language:       OpenCL C
    .language_version:
      - 2
      - 0
    .max_flat_workgroup_size: 1024
    .name:           _ZN4vllm31batched_rotary_embedding_kernelIN3c104HalfELb0EEEvPKlPT_S6_PKS5_S4_illliii
    .private_segment_fixed_size: 0
    .sgpr_count:     34
    .sgpr_spill_count: 0
    .symbol:         _ZN4vllm31batched_rotary_embedding_kernelIN3c104HalfELb0EEEvPKlPT_S6_PKS5_S4_illliii.kd
    .uniform_work_group_size: 1
    .uses_dynamic_stack: false
    .vgpr_count:     18
    .vgpr_spill_count: 0
    .wavefront_size: 64
  - .agpr_count:     0
    .args:
      - .actual_access:  read_only
        .address_space:  global
        .offset:         0
        .size:           8
        .value_kind:     global_buffer
      - .address_space:  global
        .offset:         8
        .size:           8
        .value_kind:     global_buffer
      - .address_space:  global
        .offset:         16
        .size:           8
        .value_kind:     global_buffer
      - .actual_access:  read_only
        .address_space:  global
        .offset:         24
        .size:           8
        .value_kind:     global_buffer
      - .actual_access:  read_only
        .address_space:  global
        .offset:         32
        .size:           8
        .value_kind:     global_buffer
      - .offset:         40
        .size:           4
        .value_kind:     by_value
      - .offset:         48
        .size:           8
        .value_kind:     by_value
      - .offset:         56
        .size:           8
        .value_kind:     by_value
      - .offset:         64
        .size:           8
        .value_kind:     by_value
      - .offset:         72
        .size:           4
        .value_kind:     by_value
      - .offset:         76
        .size:           4
        .value_kind:     by_value
      - .offset:         80
        .size:           4
        .value_kind:     by_value
      - .offset:         88
        .size:           4
        .value_kind:     hidden_block_count_x
      - .offset:         92
        .size:           4
        .value_kind:     hidden_block_count_y
      - .offset:         96
        .size:           4
        .value_kind:     hidden_block_count_z
      - .offset:         100
        .size:           2
        .value_kind:     hidden_group_size_x
      - .offset:         102
        .size:           2
        .value_kind:     hidden_group_size_y
      - .offset:         104
        .size:           2
        .value_kind:     hidden_group_size_z
      - .offset:         106
        .size:           2
        .value_kind:     hidden_remainder_x
      - .offset:         108
        .size:           2
        .value_kind:     hidden_remainder_y
      - .offset:         110
        .size:           2
        .value_kind:     hidden_remainder_z
      - .offset:         128
        .size:           8
        .value_kind:     hidden_global_offset_x
      - .offset:         136
        .size:           8
        .value_kind:     hidden_global_offset_y
      - .offset:         144
        .size:           8
        .value_kind:     hidden_global_offset_z
      - .offset:         152
        .size:           2
        .value_kind:     hidden_grid_dims
    .group_segment_fixed_size: 0
    .kernarg_segment_align: 8
    .kernarg_segment_size: 344
    .language:       OpenCL C
    .language_version:
      - 2
      - 0
    .max_flat_workgroup_size: 1024
    .name:           _ZN4vllm31batched_rotary_embedding_kernelIN3c108BFloat16ELb1EEEvPKlPT_S6_PKS5_S4_illliii
    .private_segment_fixed_size: 0
    .sgpr_count:     40
    .sgpr_spill_count: 0
    .symbol:         _ZN4vllm31batched_rotary_embedding_kernelIN3c108BFloat16ELb1EEEvPKlPT_S6_PKS5_S4_illliii.kd
    .uniform_work_group_size: 1
    .uses_dynamic_stack: false
    .vgpr_count:     21
    .vgpr_spill_count: 0
    .wavefront_size: 64
  - .agpr_count:     0
    .args:
      - .actual_access:  read_only
        .address_space:  global
        .offset:         0
        .size:           8
        .value_kind:     global_buffer
      - .address_space:  global
        .offset:         8
        .size:           8
        .value_kind:     global_buffer
      - .address_space:  global
        .offset:         16
        .size:           8
        .value_kind:     global_buffer
      - .actual_access:  read_only
        .address_space:  global
        .offset:         24
        .size:           8
        .value_kind:     global_buffer
      - .actual_access:  read_only
        .address_space:  global
        .offset:         32
        .size:           8
        .value_kind:     global_buffer
      - .offset:         40
        .size:           4
        .value_kind:     by_value
      - .offset:         48
        .size:           8
        .value_kind:     by_value
      - .offset:         56
        .size:           8
        .value_kind:     by_value
      - .offset:         64
        .size:           8
        .value_kind:     by_value
      - .offset:         72
        .size:           4
        .value_kind:     by_value
      - .offset:         76
        .size:           4
        .value_kind:     by_value
      - .offset:         80
        .size:           4
        .value_kind:     by_value
      - .offset:         88
        .size:           4
        .value_kind:     hidden_block_count_x
      - .offset:         92
        .size:           4
        .value_kind:     hidden_block_count_y
      - .offset:         96
        .size:           4
        .value_kind:     hidden_block_count_z
      - .offset:         100
        .size:           2
        .value_kind:     hidden_group_size_x
      - .offset:         102
        .size:           2
        .value_kind:     hidden_group_size_y
      - .offset:         104
        .size:           2
        .value_kind:     hidden_group_size_z
      - .offset:         106
        .size:           2
        .value_kind:     hidden_remainder_x
      - .offset:         108
        .size:           2
        .value_kind:     hidden_remainder_y
      - .offset:         110
        .size:           2
        .value_kind:     hidden_remainder_z
      - .offset:         128
        .size:           8
        .value_kind:     hidden_global_offset_x
      - .offset:         136
        .size:           8
        .value_kind:     hidden_global_offset_y
      - .offset:         144
        .size:           8
        .value_kind:     hidden_global_offset_z
      - .offset:         152
        .size:           2
        .value_kind:     hidden_grid_dims
    .group_segment_fixed_size: 0
    .kernarg_segment_align: 8
    .kernarg_segment_size: 344
    .language:       OpenCL C
    .language_version:
      - 2
      - 0
    .max_flat_workgroup_size: 1024
    .name:           _ZN4vllm31batched_rotary_embedding_kernelIN3c108BFloat16ELb0EEEvPKlPT_S6_PKS5_S4_illliii
    .private_segment_fixed_size: 0
    .sgpr_count:     36
    .sgpr_spill_count: 0
    .symbol:         _ZN4vllm31batched_rotary_embedding_kernelIN3c108BFloat16ELb0EEEvPKlPT_S6_PKS5_S4_illliii.kd
    .uniform_work_group_size: 1
    .uses_dynamic_stack: false
    .vgpr_count:     20
    .vgpr_spill_count: 0
    .wavefront_size: 64
amdhsa.target:   amdgcn-amd-amdhsa--gfx90a
amdhsa.version:
  - 1
  - 2
...

	.end_amdgpu_metadata
